;; amdgpu-corpus repo=ROCm/rocFFT kind=compiled arch=gfx906 opt=O3
	.text
	.amdgcn_target "amdgcn-amd-amdhsa--gfx906"
	.amdhsa_code_object_version 6
	.protected	bluestein_single_back_len1404_dim1_half_op_CI_CI ; -- Begin function bluestein_single_back_len1404_dim1_half_op_CI_CI
	.globl	bluestein_single_back_len1404_dim1_half_op_CI_CI
	.p2align	8
	.type	bluestein_single_back_len1404_dim1_half_op_CI_CI,@function
bluestein_single_back_len1404_dim1_half_op_CI_CI: ; @bluestein_single_back_len1404_dim1_half_op_CI_CI
; %bb.0:
	s_load_dwordx4 s[16:19], s[4:5], 0x28
	v_mul_u32_u24_e32 v1, 0x231, v0
	v_add_u32_sdwa v12, s6, v1 dst_sel:DWORD dst_unused:UNUSED_PAD src0_sel:DWORD src1_sel:WORD_1
	v_mov_b32_e32 v13, 0
	s_waitcnt lgkmcnt(0)
	v_cmp_gt_u64_e32 vcc, s[16:17], v[12:13]
	s_and_saveexec_b64 s[0:1], vcc
	s_cbranch_execz .LBB0_10
; %bb.1:
	s_load_dwordx4 s[0:3], s[4:5], 0x18
	s_load_dwordx4 s[12:15], s[4:5], 0x0
                                        ; implicit-def: $vgpr94
                                        ; implicit-def: $vgpr95
	s_waitcnt lgkmcnt(0)
	s_load_dwordx4 s[8:11], s[0:1], 0x0
	s_movk_i32 s0, 0x75
	v_mul_lo_u16_sdwa v1, v1, s0 dst_sel:DWORD dst_unused:UNUSED_PAD src0_sel:WORD_1 src1_sel:DWORD
	v_sub_u16_e32 v52, v0, v1
	v_lshlrev_b32_e32 v54, 2, v52
	s_waitcnt lgkmcnt(0)
	v_mad_u64_u32 v[0:1], s[6:7], s10, v12, 0
	v_mad_u64_u32 v[2:3], s[6:7], s8, v52, 0
	s_mul_i32 s1, s9, 0xaf8
	global_load_dword v53, v54, s[12:13]
	global_load_dword v51, v54, s[12:13] offset:2808
	v_mad_u64_u32 v[4:5], s[6:7], s11, v12, v[1:2]
	v_add_u32_e32 v21, 0xa00, v54
	v_add_u32_e32 v22, 0xe00, v54
	v_mad_u64_u32 v[5:6], s[6:7], s9, v52, v[3:4]
	v_mov_b32_e32 v1, v4
	v_lshlrev_b64 v[0:1], 2, v[0:1]
	v_mov_b32_e32 v6, s19
	v_mov_b32_e32 v3, v5
	v_add_co_u32_e32 v4, vcc, s18, v0
	v_addc_co_u32_e32 v5, vcc, v6, v1, vcc
	v_lshlrev_b64 v[0:1], 2, v[2:3]
	v_mov_b32_e32 v2, s13
	v_add_co_u32_e32 v0, vcc, v4, v0
	v_addc_co_u32_e32 v1, vcc, v5, v1, vcc
	global_load_dword v4, v[0:1], off
	v_add_co_u32_e32 v5, vcc, s12, v54
	s_mul_hi_u32 s6, s8, 0xaf8
	v_addc_co_u32_e32 v6, vcc, 0, v2, vcc
	s_add_i32 s1, s6, s1
	s_mul_i32 s6, s8, 0xaf8
	s_mul_i32 s7, s9, 0xfffff6dc
	s_mul_hi_u32 s9, s8, 0xfffff6dc
	v_mov_b32_e32 v2, s1
	v_add_co_u32_e32 v0, vcc, s6, v0
	s_sub_i32 s9, s9, s8
	v_addc_co_u32_e32 v1, vcc, v1, v2, vcc
	s_add_i32 s7, s9, s7
	s_mulk_i32 s8, 0xf6dc
	v_mov_b32_e32 v3, s7
	v_add_co_u32_e32 v2, vcc, s8, v0
	v_addc_co_u32_e32 v3, vcc, v1, v3, vcc
	global_load_dword v7, v[0:1], off
	global_load_dword v8, v[2:3], off
	global_load_dword v50, v54, s[12:13] offset:468
	v_mov_b32_e32 v1, s1
	v_add_co_u32_e32 v0, vcc, s6, v2
	v_addc_co_u32_e32 v1, vcc, v3, v1, vcc
	global_load_dword v49, v54, s[12:13] offset:3276
	v_mov_b32_e32 v3, s7
	v_add_co_u32_e32 v2, vcc, s8, v0
	v_addc_co_u32_e32 v3, vcc, v1, v3, vcc
	global_load_dword v9, v[0:1], off
	global_load_dword v10, v[2:3], off
	global_load_dword v48, v54, s[12:13] offset:936
	v_mov_b32_e32 v1, s1
	v_add_co_u32_e32 v0, vcc, s6, v2
	v_addc_co_u32_e32 v1, vcc, v3, v1, vcc
	global_load_dword v11, v[0:1], off
	global_load_dword v47, v54, s[12:13] offset:3744
	v_mov_b32_e32 v2, s7
	v_add_co_u32_e32 v0, vcc, s8, v0
	v_addc_co_u32_e32 v1, vcc, v1, v2, vcc
	;; [unrolled: 5-line block ×3, first 2 shown]
	s_movk_i32 s9, 0x1000
	v_add_co_u32_e32 v2, vcc, s9, v5
	global_load_dword v14, v[0:1], off
	v_addc_co_u32_e32 v3, vcc, 0, v6, vcc
	global_load_dword v45, v[2:3], off offset:116
	v_mov_b32_e32 v5, s7
	v_add_co_u32_e32 v0, vcc, s8, v0
	v_addc_co_u32_e32 v1, vcc, v1, v5, vcc
	global_load_dword v5, v[0:1], off
	global_load_dword v44, v54, s[12:13] offset:1872
	v_mov_b32_e32 v6, s1
	v_add_co_u32_e32 v0, vcc, s6, v0
	v_addc_co_u32_e32 v1, vcc, v1, v6, vcc
	global_load_dword v6, v[0:1], off
	global_load_dword v43, v[2:3], off offset:584
	v_mov_b32_e32 v15, s7
	v_add_co_u32_e32 v0, vcc, s8, v0
	v_addc_co_u32_e32 v1, vcc, v1, v15, vcc
	global_load_dword v15, v[0:1], off
	global_load_dword v42, v54, s[12:13] offset:2340
	v_mov_b32_e32 v16, s1
	v_add_co_u32_e32 v0, vcc, s6, v0
	v_addc_co_u32_e32 v1, vcc, v1, v16, vcc
	global_load_dword v16, v[0:1], off
	global_load_dword v41, v[2:3], off offset:1052
	s_waitcnt vmcnt(21)
	v_lshrrev_b32_e32 v0, 16, v4
	v_mul_f16_sdwa v1, v53, v0 dst_sel:DWORD dst_unused:UNUSED_PAD src0_sel:WORD_1 src1_sel:DWORD
	v_mul_f16_sdwa v2, v53, v4 dst_sel:DWORD dst_unused:UNUSED_PAD src0_sel:WORD_1 src1_sel:DWORD
	v_fma_f16 v1, v53, v4, v1
	v_fma_f16 v0, v53, v0, -v2
	v_pack_b32_f16 v0, v1, v0
	s_load_dwordx4 s[8:11], s[2:3], 0x0
	v_add_u32_e32 v25, 0x1200, v54
	v_add_co_u32_e32 v73, vcc, s0, v52
	v_addc_co_u32_e64 v74, s[0:1], 0, 0, vcc
	s_movk_i32 s0, 0xea
	v_add_co_u32_e32 v33, vcc, s0, v52
	s_movk_i32 s0, 0x15f
	v_add_co_u32_e32 v36, vcc, s0, v52
	s_waitcnt vmcnt(20)
	v_lshrrev_b32_e32 v1, 16, v7
	v_mul_f16_sdwa v2, v51, v1 dst_sel:DWORD dst_unused:UNUSED_PAD src0_sel:WORD_1 src1_sel:DWORD
	v_mul_f16_sdwa v3, v51, v7 dst_sel:DWORD dst_unused:UNUSED_PAD src0_sel:WORD_1 src1_sel:DWORD
	v_fma_f16 v2, v51, v7, v2
	v_fma_f16 v1, v51, v1, -v3
	v_pack_b32_f16 v1, v2, v1
	ds_write_b32 v54, v1 offset:2808
	s_waitcnt vmcnt(19)
	v_lshrrev_b32_e32 v1, 16, v8
	s_waitcnt vmcnt(18)
	v_mul_f16_sdwa v2, v50, v1 dst_sel:DWORD dst_unused:UNUSED_PAD src0_sel:WORD_1 src1_sel:DWORD
	v_mul_f16_sdwa v3, v50, v8 dst_sel:DWORD dst_unused:UNUSED_PAD src0_sel:WORD_1 src1_sel:DWORD
	v_fma_f16 v2, v50, v8, v2
	v_fma_f16 v1, v50, v1, -v3
	v_pack_b32_f16 v1, v2, v1
	ds_write2_b32 v54, v0, v1 offset1:117
	s_waitcnt vmcnt(16)
	v_lshrrev_b32_e32 v0, 16, v9
	v_mul_f16_sdwa v1, v49, v0 dst_sel:DWORD dst_unused:UNUSED_PAD src0_sel:WORD_1 src1_sel:DWORD
	v_mul_f16_sdwa v2, v49, v9 dst_sel:DWORD dst_unused:UNUSED_PAD src0_sel:WORD_1 src1_sel:DWORD
	v_fma_f16 v1, v49, v9, v1
	v_fma_f16 v0, v49, v0, -v2
	v_pack_b32_f16 v1, v1, v0
	s_waitcnt vmcnt(15)
	v_lshrrev_b32_e32 v0, 16, v10
	s_waitcnt vmcnt(14)
	v_mul_f16_sdwa v2, v48, v0 dst_sel:DWORD dst_unused:UNUSED_PAD src0_sel:WORD_1 src1_sel:DWORD
	v_mul_f16_sdwa v3, v48, v10 dst_sel:DWORD dst_unused:UNUSED_PAD src0_sel:WORD_1 src1_sel:DWORD
	v_fma_f16 v2, v48, v10, v2
	v_fma_f16 v0, v48, v0, -v3
	v_pack_b32_f16 v3, v2, v0
	s_waitcnt vmcnt(13)
	v_lshrrev_b32_e32 v0, 16, v11
	s_waitcnt vmcnt(12)
	v_mul_f16_sdwa v2, v47, v0 dst_sel:DWORD dst_unused:UNUSED_PAD src0_sel:WORD_1 src1_sel:DWORD
	v_mul_f16_sdwa v4, v47, v11 dst_sel:DWORD dst_unused:UNUSED_PAD src0_sel:WORD_1 src1_sel:DWORD
	v_fma_f16 v2, v47, v11, v2
	v_fma_f16 v0, v47, v0, -v4
	v_pack_b32_f16 v2, v2, v0
	v_add_u32_e32 v0, 0xc00, v54
	ds_write2_b32 v0, v1, v2 offset0:51 offset1:168
	s_waitcnt vmcnt(11)
	v_lshrrev_b32_e32 v1, 16, v13
	s_waitcnt vmcnt(10)
	v_mul_f16_sdwa v2, v46, v1 dst_sel:DWORD dst_unused:UNUSED_PAD src0_sel:WORD_1 src1_sel:DWORD
	v_mul_f16_sdwa v4, v46, v13 dst_sel:DWORD dst_unused:UNUSED_PAD src0_sel:WORD_1 src1_sel:DWORD
	v_fma_f16 v2, v46, v13, v2
	v_fma_f16 v1, v46, v1, -v4
	v_pack_b32_f16 v1, v2, v1
	v_add_u32_e32 v2, 0x200, v54
	ds_write2_b32 v2, v3, v1 offset0:106 offset1:223
	s_waitcnt vmcnt(9)
	v_lshrrev_b32_e32 v1, 16, v14
	s_waitcnt vmcnt(8)
	v_mul_f16_sdwa v3, v45, v1 dst_sel:DWORD dst_unused:UNUSED_PAD src0_sel:WORD_1 src1_sel:DWORD
	v_mul_f16_sdwa v4, v45, v14 dst_sel:DWORD dst_unused:UNUSED_PAD src0_sel:WORD_1 src1_sel:DWORD
	v_fma_f16 v3, v45, v14, v3
	v_fma_f16 v1, v45, v1, -v4
	v_pack_b32_f16 v3, v3, v1
	s_waitcnt vmcnt(7)
	v_lshrrev_b32_e32 v1, 16, v5
	s_waitcnt vmcnt(6)
	v_mul_f16_sdwa v4, v44, v1 dst_sel:DWORD dst_unused:UNUSED_PAD src0_sel:WORD_1 src1_sel:DWORD
	v_fma_f16 v4, v44, v5, v4
	v_mul_f16_sdwa v5, v44, v5 dst_sel:DWORD dst_unused:UNUSED_PAD src0_sel:WORD_1 src1_sel:DWORD
	v_fma_f16 v1, v44, v1, -v5
	v_pack_b32_f16 v4, v4, v1
	s_waitcnt vmcnt(5)
	v_lshrrev_b32_e32 v1, 16, v6
	s_waitcnt vmcnt(4)
	v_mul_f16_sdwa v5, v43, v1 dst_sel:DWORD dst_unused:UNUSED_PAD src0_sel:WORD_1 src1_sel:DWORD
	v_fma_f16 v5, v43, v6, v5
	v_mul_f16_sdwa v6, v43, v6 dst_sel:DWORD dst_unused:UNUSED_PAD src0_sel:WORD_1 src1_sel:DWORD
	v_fma_f16 v1, v43, v1, -v6
	v_pack_b32_f16 v5, v5, v1
	v_add_u32_e32 v1, 0x1000, v54
	ds_write2_b32 v1, v3, v5 offset0:29 offset1:146
	s_waitcnt vmcnt(3)
	v_lshrrev_b32_e32 v3, 16, v15
	s_waitcnt vmcnt(2)
	v_mul_f16_sdwa v5, v42, v3 dst_sel:DWORD dst_unused:UNUSED_PAD src0_sel:WORD_1 src1_sel:DWORD
	v_mul_f16_sdwa v6, v42, v15 dst_sel:DWORD dst_unused:UNUSED_PAD src0_sel:WORD_1 src1_sel:DWORD
	v_fma_f16 v5, v42, v15, v5
	v_fma_f16 v3, v42, v3, -v6
	v_pack_b32_f16 v5, v5, v3
	v_add_u32_e32 v3, 0x600, v54
	ds_write2_b32 v3, v4, v5 offset0:84 offset1:201
	s_waitcnt vmcnt(1)
	v_lshrrev_b32_e32 v4, 16, v16
	s_waitcnt vmcnt(0)
	v_mul_f16_sdwa v5, v41, v4 dst_sel:DWORD dst_unused:UNUSED_PAD src0_sel:WORD_1 src1_sel:DWORD
	v_mul_f16_sdwa v6, v41, v16 dst_sel:DWORD dst_unused:UNUSED_PAD src0_sel:WORD_1 src1_sel:DWORD
	v_fma_f16 v5, v41, v16, v5
	v_fma_f16 v4, v41, v4, -v6
	v_pack_b32_f16 v4, v5, v4
	ds_write_b32 v54, v4 offset:5148
	s_waitcnt lgkmcnt(0)
	s_barrier
	ds_read2_b32 v[4:5], v54 offset1:117
	ds_read2_b32 v[6:7], v21 offset0:62 offset1:179
	ds_read2_b32 v[8:9], v2 offset0:106 offset1:223
	;; [unrolled: 1-line block ×5, first 2 shown]
	s_waitcnt lgkmcnt(4)
	v_pk_add_f16 v14, v4, v6 neg_lo:[0,1] neg_hi:[0,1]
	v_pk_add_f16 v6, v5, v7 neg_lo:[0,1] neg_hi:[0,1]
	s_waitcnt lgkmcnt(2)
	v_pk_add_f16 v20, v8, v10 neg_lo:[0,1] neg_hi:[0,1]
	v_pk_fma_f16 v19, v8, 2.0, v20 op_sel_hi:[1,0,1] neg_lo:[0,0,1] neg_hi:[0,0,1]
	v_pk_add_f16 v8, v9, v11 neg_lo:[0,1] neg_hi:[0,1]
	s_waitcnt lgkmcnt(0)
	v_pk_add_f16 v10, v15, v17 neg_lo:[0,1] neg_hi:[0,1]
	v_pk_add_f16 v17, v16, v18 neg_lo:[0,1] neg_hi:[0,1]
	v_lshlrev_b32_e32 v18, 1, v52
	v_pk_fma_f16 v13, v4, 2.0, v14 op_sel_hi:[1,0,1] neg_lo:[0,0,1] neg_hi:[0,0,1]
	v_pk_fma_f16 v5, v5, 2.0, v6 op_sel_hi:[1,0,1] neg_lo:[0,0,1] neg_hi:[0,0,1]
	;; [unrolled: 1-line block ×4, first 2 shown]
	v_lshlrev_b32_e32 v39, 3, v52
	v_lshlrev_b32_e32 v40, 3, v73
	v_lshlrev_b32_e32 v57, 3, v33
	v_lshlrev_b32_e32 v58, 3, v36
	v_lshlrev_b32_e32 v34, 2, v18
	v_pk_fma_f16 v16, v16, 2.0, v17 op_sel_hi:[1,0,1] neg_lo:[0,0,1] neg_hi:[0,0,1]
	s_barrier
	ds_write_b64 v39, v[13:14]
	ds_write_b64 v40, v[5:6]
	;; [unrolled: 1-line block ×4, first 2 shown]
	ds_write_b64 v34, v[9:10] offset:3744
	ds_write_b64 v39, v[16:17] offset:4680
	v_and_b32_e32 v17, 1, v52
	v_lshlrev_b32_e32 v4, 2, v17
	s_waitcnt lgkmcnt(0)
	s_barrier
	global_load_dword v37, v4, s[14:15]
	v_add_u32_e32 v75, 0x249, v52
	v_and_b32_e32 v20, 1, v75
	v_and_b32_e32 v19, 1, v73
	v_lshlrev_b32_e32 v6, 2, v20
	v_lshlrev_b32_e32 v4, 2, v19
	global_load_dword v38, v6, s[14:15]
	global_load_ushort v59, v4, s[14:15]
	v_and_b32_e32 v23, 1, v36
	v_lshlrev_b32_e32 v4, 2, v23
	global_load_ushort v60, v4, s[14:15] offset:2
	global_load_ushort v63, v4, s[14:15]
	global_load_ushort v62, v6, s[14:15] offset:2
	ds_read2_b32 v[4:5], v21 offset0:62 offset1:179
	ds_read2_b32 v[6:7], v54 offset1:117
	s_movk_i32 s0, 0xfc
	v_and_or_b32 v24, v18, s0, v17
	v_lshlrev_b32_e32 v61, 2, v24
	s_waitcnt lgkmcnt(1)
	v_lshrrev_b32_e32 v8, 16, v4
	s_movk_i32 s0, 0x1fc
	v_lshlrev_b32_e32 v35, 1, v73
	v_add_u32_e32 v78, 0x3a8, v18
	v_and_b32_e32 v31, 3, v73
	v_and_b32_e32 v55, 3, v36
	;; [unrolled: 1-line block ×4, first 2 shown]
	s_mov_b32 s1, 0xbaee
	s_load_dwordx2 s[2:3], s[4:5], 0x38
	s_waitcnt vmcnt(5)
	v_mul_f16_sdwa v9, v4, v37 dst_sel:DWORD dst_unused:UNUSED_PAD src0_sel:DWORD src1_sel:WORD_1
	v_fma_f16 v9, v8, v37, v9
	v_mul_f16_sdwa v8, v8, v37 dst_sel:DWORD dst_unused:UNUSED_PAD src0_sel:DWORD src1_sel:WORD_1
	v_fma_f16 v4, v4, v37, -v8
	s_waitcnt lgkmcnt(0)
	v_lshrrev_b32_e32 v8, 16, v6
	v_sub_f16_e32 v4, v6, v4
	v_sub_f16_e32 v9, v8, v9
	v_fma_f16 v8, v8, 2.0, -v9
	v_fma_f16 v6, v6, 2.0, -v4
	v_pack_b32_f16 v6, v6, v8
	v_pack_b32_f16 v4, v4, v9
	ds_read2_b32 v[8:9], v2 offset0:106 offset1:223
	ds_read2_b32 v[10:11], v22 offset0:40 offset1:157
	;; [unrolled: 1-line block ×4, first 2 shown]
	s_waitcnt vmcnt(0) lgkmcnt(0)
	s_barrier
	ds_write2_b32 v61, v6, v4 offset1:2
	v_lshrrev_b32_e32 v4, 16, v5
	v_mul_f16_sdwa v6, v4, v38 dst_sel:DWORD dst_unused:UNUSED_PAD src0_sel:DWORD src1_sel:WORD_1
	v_fma_f16 v6, v5, v59, -v6
	v_mul_f16_sdwa v5, v5, v38 dst_sel:DWORD dst_unused:UNUSED_PAD src0_sel:DWORD src1_sel:WORD_1
	v_fma_f16 v4, v4, v59, v5
	v_sub_f16_e32 v5, v7, v6
	v_lshrrev_b32_e32 v6, 16, v7
	v_sub_f16_e32 v4, v6, v4
	v_fma_f16 v7, v7, 2.0, -v5
	v_fma_f16 v6, v6, 2.0, -v4
	v_pack_b32_f16 v4, v5, v4
	v_and_or_b32 v5, v35, s0, v19
	v_pack_b32_f16 v6, v7, v6
	v_lshlrev_b32_e32 v64, 2, v5
	ds_write2_b32 v64, v6, v4 offset1:2
	v_lshrrev_b32_e32 v4, 16, v10
	v_mul_f16_sdwa v5, v10, v37 dst_sel:DWORD dst_unused:UNUSED_PAD src0_sel:DWORD src1_sel:WORD_1
	v_fma_f16 v5, v4, v37, v5
	v_mul_f16_sdwa v4, v4, v37 dst_sel:DWORD dst_unused:UNUSED_PAD src0_sel:DWORD src1_sel:WORD_1
	v_fma_f16 v4, v10, v37, -v4
	v_lshrrev_b32_e32 v6, 16, v8
	v_sub_f16_e32 v4, v8, v4
	v_sub_f16_e32 v5, v6, v5
	v_fma_f16 v6, v6, 2.0, -v5
	v_fma_f16 v7, v8, 2.0, -v4
	v_pack_b32_f16 v4, v4, v5
	s_movk_i32 s0, 0x3fc
	v_lshlrev_b32_e32 v5, 1, v33
	v_and_or_b32 v5, v5, s0, v17
	v_pack_b32_f16 v6, v7, v6
	v_lshlrev_b32_e32 v65, 2, v5
	ds_write2_b32 v65, v6, v4 offset1:2
	v_lshrrev_b32_e32 v4, 16, v11
	v_mul_f16_e32 v5, v4, v60
	v_mul_f16_e32 v6, v11, v60
	v_fma_f16 v5, v11, v63, -v5
	v_fma_f16 v4, v4, v63, v6
	v_lshrrev_b32_e32 v6, 16, v9
	v_sub_f16_e32 v5, v9, v5
	v_lshlrev_b32_e32 v8, 1, v36
	v_sub_f16_e32 v4, v6, v4
	v_fma_f16 v7, v9, 2.0, -v5
	v_and_or_b32 v8, v8, s0, v23
	v_fma_f16 v6, v6, 2.0, -v4
	v_pack_b32_f16 v6, v7, v6
	v_pack_b32_f16 v4, v5, v4
	v_lshlrev_b32_e32 v66, 2, v8
	ds_write2_b32 v66, v6, v4 offset1:2
	v_lshrrev_b32_e32 v4, 16, v15
	v_mul_f16_sdwa v5, v15, v37 dst_sel:DWORD dst_unused:UNUSED_PAD src0_sel:DWORD src1_sel:WORD_1
	v_fma_f16 v5, v4, v37, v5
	v_mul_f16_sdwa v4, v4, v37 dst_sel:DWORD dst_unused:UNUSED_PAD src0_sel:DWORD src1_sel:WORD_1
	v_fma_f16 v4, v15, v37, -v4
	v_lshrrev_b32_e32 v6, 16, v13
	v_sub_f16_e32 v4, v13, v4
	v_sub_f16_e32 v5, v6, v5
	s_movk_i32 s0, 0x7fc
	v_fma_f16 v6, v6, 2.0, -v5
	v_fma_f16 v7, v13, 2.0, -v4
	v_pack_b32_f16 v4, v4, v5
	v_and_or_b32 v5, v78, s0, v17
	v_pack_b32_f16 v6, v7, v6
	v_lshlrev_b32_e32 v67, 2, v5
	ds_write2_b32 v67, v6, v4 offset1:2
	v_lshrrev_b32_e32 v4, 16, v16
	v_mul_f16_e32 v5, v4, v62
	v_mul_f16_e32 v6, v16, v62
	v_fma_f16 v5, v16, v38, -v5
	v_fma_f16 v4, v4, v38, v6
	v_lshrrev_b32_e32 v6, 16, v14
	v_sub_f16_e32 v5, v14, v5
	s_movk_i32 s0, 0x5fc
	v_lshlrev_b32_e32 v8, 1, v75
	v_sub_f16_e32 v4, v6, v4
	v_fma_f16 v7, v14, 2.0, -v5
	v_and_or_b32 v8, v8, s0, v20
	v_fma_f16 v6, v6, 2.0, -v4
	v_pack_b32_f16 v6, v7, v6
	v_pack_b32_f16 v4, v5, v4
	v_lshlrev_b32_e32 v68, 2, v8
	ds_write2_b32 v68, v6, v4 offset1:2
	v_lshlrev_b32_e32 v4, 3, v31
	s_waitcnt lgkmcnt(0)
	s_barrier
	global_load_dwordx2 v[13:14], v4, s[14:15] offset:8
	v_lshlrev_b32_e32 v4, 3, v55
	global_load_dwordx2 v[15:16], v4, s[14:15] offset:8
	v_lshlrev_b32_e32 v4, 3, v32
	;; [unrolled: 2-line block ×3, first 2 shown]
	global_load_dwordx2 v[19:20], v4, s[14:15] offset:8
	ds_read2_b32 v[4:5], v3 offset0:84 offset1:201
	ds_read2_b32 v[6:7], v22 offset0:40 offset1:157
	;; [unrolled: 1-line block ×3, first 2 shown]
	s_movk_i32 s0, 0x3aee
	s_waitcnt lgkmcnt(2)
	v_lshrrev_b32_e32 v8, 16, v5
	s_waitcnt vmcnt(3)
	v_mul_f16_sdwa v9, v5, v13 dst_sel:DWORD dst_unused:UNUSED_PAD src0_sel:DWORD src1_sel:WORD_1
	v_fma_f16 v56, v8, v13, v9
	v_mul_f16_sdwa v8, v8, v13 dst_sel:DWORD dst_unused:UNUSED_PAD src0_sel:DWORD src1_sel:WORD_1
	v_fma_f16 v5, v5, v13, -v8
	s_waitcnt lgkmcnt(1)
	v_lshrrev_b32_e32 v8, 16, v7
	v_mul_f16_sdwa v9, v7, v14 dst_sel:DWORD dst_unused:UNUSED_PAD src0_sel:DWORD src1_sel:WORD_1
	v_fma_f16 v70, v8, v14, v9
	v_mul_f16_sdwa v8, v8, v14 dst_sel:DWORD dst_unused:UNUSED_PAD src0_sel:DWORD src1_sel:WORD_1
	v_fma_f16 v71, v7, v14, -v8
	ds_read2_b32 v[7:8], v54 offset1:117
	ds_read2_b32 v[9:10], v21 offset0:62 offset1:179
	v_add_f16_e32 v11, v5, v71
	v_sub_f16_e32 v21, v56, v70
	s_waitcnt vmcnt(2) lgkmcnt(2)
	v_mul_f16_sdwa v22, v30, v16 dst_sel:DWORD dst_unused:UNUSED_PAD src0_sel:DWORD src1_sel:WORD_1
	s_waitcnt lgkmcnt(1)
	v_fma_f16 v11, v11, -0.5, v8
	v_fma_f16 v23, v21, s0, v11
	v_fma_f16 v24, v21, s1, v11
	s_waitcnt lgkmcnt(0)
	v_lshrrev_b32_e32 v11, 16, v10
	v_mul_f16_sdwa v21, v10, v15 dst_sel:DWORD dst_unused:UNUSED_PAD src0_sel:DWORD src1_sel:WORD_1
	v_fma_f16 v72, v11, v15, v21
	v_mul_f16_sdwa v11, v11, v15 dst_sel:DWORD dst_unused:UNUSED_PAD src0_sel:DWORD src1_sel:WORD_1
	v_fma_f16 v81, v10, v15, -v11
	ds_read2_b32 v[10:11], v2 offset0:106 offset1:223
	v_lshrrev_b32_e32 v21, 16, v30
	v_fma_f16 v83, v21, v16, v22
	v_mul_f16_sdwa v21, v21, v16 dst_sel:DWORD dst_unused:UNUSED_PAD src0_sel:DWORD src1_sel:WORD_1
	v_fma_f16 v84, v30, v16, -v21
	v_add_f16_e32 v21, v81, v84
	s_waitcnt lgkmcnt(0)
	v_fma_f16 v21, v21, -0.5, v11
	v_sub_f16_e32 v22, v72, v83
	v_fma_f16 v25, v22, s0, v21
	v_fma_f16 v26, v22, s1, v21
	v_lshrrev_b32_e32 v21, 16, v4
	s_waitcnt vmcnt(0)
	v_mul_f16_sdwa v22, v21, v19 dst_sel:DWORD dst_unused:UNUSED_PAD src0_sel:DWORD src1_sel:WORD_1
	v_fma_f16 v22, v4, v19, -v22
	v_mul_f16_sdwa v4, v4, v19 dst_sel:DWORD dst_unused:UNUSED_PAD src0_sel:DWORD src1_sel:WORD_1
	v_fma_f16 v4, v21, v19, v4
	v_lshrrev_b32_e32 v21, 16, v6
	v_mul_f16_sdwa v28, v21, v20 dst_sel:DWORD dst_unused:UNUSED_PAD src0_sel:DWORD src1_sel:WORD_1
	v_fma_f16 v28, v6, v20, -v28
	v_mul_f16_sdwa v6, v6, v20 dst_sel:DWORD dst_unused:UNUSED_PAD src0_sel:DWORD src1_sel:WORD_1
	v_fma_f16 v6, v21, v20, v6
	v_lshrrev_b32_e32 v21, 16, v7
	v_add_f16_e32 v30, v21, v4
	v_add_f16_e32 v80, v30, v6
	v_sub_f16_e32 v30, v4, v6
	v_add_f16_e32 v4, v4, v6
	v_lshrrev_b32_e32 v6, 2, v52
	v_mul_u32_u24_e32 v6, 12, v6
	v_or_b32_e32 v6, v6, v27
	v_add_f16_e32 v27, v22, v28
	v_fma_f16 v4, v4, -0.5, v21
	v_add_f16_e32 v21, v7, v22
	v_sub_f16_e32 v77, v22, v28
	v_fma_f16 v7, v27, -0.5, v7
	v_add_f16_e32 v21, v21, v28
	v_fma_f16 v22, v30, s0, v7
	v_fma_f16 v76, v77, s1, v4
	v_lshlrev_b32_e32 v69, 2, v6
	v_pack_b32_f16 v6, v21, v80
	v_pack_b32_f16 v27, v22, v76
	s_barrier
	ds_write2_b32 v69, v6, v27 offset1:4
	v_fma_f16 v77, v77, s0, v4
	v_lshrrev_b32_e32 v4, 16, v8
	v_add_f16_e32 v6, v8, v5
	v_add_f16_e32 v28, v6, v71
	;; [unrolled: 1-line block ×3, first 2 shown]
	v_fma_f16 v27, v30, s1, v7
	v_add_f16_e32 v79, v6, v70
	v_add_f16_e32 v6, v56, v70
	v_fma_f16 v4, v6, -0.5, v4
	v_pack_b32_f16 v6, v27, v77
	ds_write_b32 v69, v6 offset:32
	v_lshrrev_b32_e32 v6, 2, v73
	v_sub_f16_e32 v5, v5, v71
	v_mul_u32_u24_e32 v6, 12, v6
	v_or_b32_e32 v6, v6, v31
	v_fma_f16 v82, v5, s1, v4
	v_lshlrev_b32_e32 v70, 2, v6
	v_pack_b32_f16 v6, v28, v79
	v_pack_b32_f16 v7, v23, v82
	ds_write2_b32 v70, v6, v7 offset1:4
	v_lshrrev_b32_e32 v6, 16, v9
	v_mul_f16_sdwa v8, v9, v17 dst_sel:DWORD dst_unused:UNUSED_PAD src0_sel:DWORD src1_sel:WORD_1
	v_mul_f16_sdwa v7, v6, v17 dst_sel:DWORD dst_unused:UNUSED_PAD src0_sel:DWORD src1_sel:WORD_1
	v_fma_f16 v6, v6, v17, v8
	v_lshrrev_b32_e32 v8, 16, v29
	v_fma_f16 v7, v9, v17, -v7
	v_mul_f16_sdwa v9, v8, v18 dst_sel:DWORD dst_unused:UNUSED_PAD src0_sel:DWORD src1_sel:WORD_1
	v_fma_f16 v9, v29, v18, -v9
	v_mul_f16_sdwa v29, v29, v18 dst_sel:DWORD dst_unused:UNUSED_PAD src0_sel:DWORD src1_sel:WORD_1
	v_fma_f16 v87, v5, s0, v4
	v_lshrrev_b32_e32 v4, 16, v10
	v_fma_f16 v8, v8, v18, v29
	v_add_f16_e32 v5, v4, v6
	v_add_f16_e32 v88, v5, v8
	v_sub_f16_e32 v5, v6, v8
	v_add_f16_e32 v6, v6, v8
	v_fma_f16 v4, v6, -0.5, v4
	v_pack_b32_f16 v6, v24, v87
	ds_write_b32 v70, v6 offset:32
	v_lshrrev_b32_e32 v6, 2, v33
	v_add_f16_e32 v8, v10, v7
	v_add_f16_e32 v30, v7, v9
	v_mul_u32_u24_e32 v6, 12, v6
	v_sub_f16_e32 v7, v7, v9
	v_add_f16_e32 v29, v8, v9
	v_fma_f16 v8, v30, -0.5, v10
	v_or_b32_e32 v6, v6, v32
	v_fma_f16 v30, v5, s0, v8
	v_fma_f16 v89, v7, s1, v4
	v_lshlrev_b32_e32 v71, 2, v6
	v_pack_b32_f16 v6, v29, v88
	v_pack_b32_f16 v9, v30, v89
	ds_write2_b32 v71, v6, v9 offset1:4
	v_fma_f16 v90, v7, s0, v4
	v_lshrrev_b32_e32 v4, 16, v11
	v_add_f16_e32 v6, v11, v81
	v_fma_f16 v31, v5, s1, v8
	v_add_f16_e32 v32, v6, v84
	v_add_f16_e32 v5, v4, v72
	v_pack_b32_f16 v6, v31, v90
	v_add_f16_e32 v91, v5, v83
	v_add_f16_e32 v5, v72, v83
	ds_write_b32 v71, v6 offset:32
	v_lshrrev_b32_e32 v6, 2, v36
	v_fma_f16 v4, v5, -0.5, v4
	v_sub_f16_e32 v5, v81, v84
	v_mul_u32_u24_e32 v6, 12, v6
	v_or_b32_e32 v6, v6, v55
	v_fma_f16 v92, v5, s1, v4
	v_fma_f16 v93, v5, s0, v4
	s_movk_i32 s0, 0x6c
	v_lshlrev_b32_e32 v72, 2, v6
	v_pack_b32_f16 v6, v32, v91
	v_pack_b32_f16 v7, v25, v92
	;; [unrolled: 1-line block ×3, first 2 shown]
	v_cmp_gt_u16_e32 vcc, s0, v52
	ds_write2_b32 v72, v6, v7 offset1:4
	ds_write_b32 v72, v4 offset:32
	s_waitcnt lgkmcnt(0)
	s_barrier
	s_and_saveexec_b64 s[0:1], vcc
	s_cbranch_execz .LBB0_3
; %bb.2:
	ds_read2_b32 v[21:22], v54 offset1:108
	ds_read2_b32 v[27:28], v2 offset0:88 offset1:196
	ds_read2_b32 v[23:24], v3 offset0:48 offset1:156
	v_add_u32_e32 v2, 0x800, v54
	ds_read2_b32 v[29:30], v2 offset0:136 offset1:244
	ds_read2_b32 v[31:32], v0 offset0:96 offset1:204
	;; [unrolled: 1-line block ×3, first 2 shown]
	ds_read_b32 v94, v54 offset:5184
	s_waitcnt lgkmcnt(6)
	v_lshrrev_b32_e32 v80, 16, v21
	v_lshrrev_b32_e32 v76, 16, v22
	s_waitcnt lgkmcnt(5)
	v_lshrrev_b32_e32 v77, 16, v27
	v_lshrrev_b32_e32 v79, 16, v28
	s_waitcnt lgkmcnt(4)
	v_lshrrev_b32_e32 v82, 16, v23
	v_lshrrev_b32_e32 v87, 16, v24
	s_waitcnt lgkmcnt(3)
	v_lshrrev_b32_e32 v88, 16, v29
	v_lshrrev_b32_e32 v89, 16, v30
	s_waitcnt lgkmcnt(2)
	v_lshrrev_b32_e32 v90, 16, v31
	v_lshrrev_b32_e32 v91, 16, v32
	s_waitcnt lgkmcnt(1)
	v_lshrrev_b32_e32 v92, 16, v25
	v_lshrrev_b32_e32 v93, 16, v26
	s_waitcnt lgkmcnt(0)
	v_lshrrev_b32_e32 v95, 16, v94
.LBB0_3:
	s_or_b64 exec, exec, s[0:1]
	s_movk_i32 s0, 0xab
	v_mul_lo_u16_sdwa v0, v52, s0 dst_sel:DWORD dst_unused:UNUSED_PAD src0_sel:BYTE_0 src1_sel:DWORD
	v_lshrrev_b16_e32 v55, 11, v0
	v_mul_lo_u16_e32 v0, 12, v55
	v_sub_u16_e32 v0, v52, v0
	v_and_b32_e32 v56, 0xff, v0
	v_mad_u64_u32 v[83:84], s[0:1], v56, 48, s[14:15]
	s_movk_i32 s4, 0x3b15
	s_movk_i32 s5, 0x388b
	global_load_dwordx4 v[4:7], v[83:84], off offset:40
	global_load_dwordx4 v[0:3], v[83:84], off offset:56
	;; [unrolled: 1-line block ×3, first 2 shown]
	s_movk_i32 s6, 0x2fb7
	s_mov_b32 s7, 0xb5ac
	s_mov_b32 s16, 0xb9fd
	;; [unrolled: 1-line block ×9, first 2 shown]
	s_waitcnt vmcnt(0)
	s_barrier
	v_mul_f16_sdwa v81, v76, v4 dst_sel:DWORD dst_unused:UNUSED_PAD src0_sel:DWORD src1_sel:WORD_1
	v_mul_f16_sdwa v83, v22, v4 dst_sel:DWORD dst_unused:UNUSED_PAD src0_sel:DWORD src1_sel:WORD_1
	;; [unrolled: 1-line block ×23, first 2 shown]
	v_fma_f16 v81, v22, v4, -v81
	v_fma_f16 v22, v76, v4, v83
	v_fma_f16 v83, v27, v5, -v84
	v_fma_f16 v27, v77, v5, v85
	;; [unrolled: 2-line block ×3, first 2 shown]
	v_fma_f16 v82, v95, v11, v114
	v_mul_f16_sdwa v96, v28, v6 dst_sel:DWORD dst_unused:UNUSED_PAD src0_sel:DWORD src1_sel:WORD_1
	v_fma_f16 v84, v28, v6, -v86
	v_fma_f16 v86, v24, v0, -v99
	v_fma_f16 v24, v87, v0, v100
	v_fma_f16 v87, v29, v1, -v101
	v_fma_f16 v29, v88, v1, v102
	;; [unrolled: 2-line block ×7, first 2 shown]
	v_fma_f16 v93, v94, v11, -v113
	v_sub_f16_e32 v118, v22, v82
	v_fma_f16 v28, v79, v6, v96
	v_add_f16_e32 v98, v81, v93
	v_sub_f16_e32 v105, v81, v93
	v_sub_f16_e32 v119, v27, v26
	v_mul_f16_e32 v94, 0xb770, v118
	v_add_f16_e32 v122, v22, v82
	v_add_f16_e32 v99, v83, v92
	v_sub_f16_e32 v107, v83, v92
	v_sub_f16_e32 v120, v28, v25
	v_mul_f16_e32 v101, 0xb770, v105
	v_mul_f16_e32 v95, 0xba95, v119
	v_fma_f16 v76, v98, s4, v94
	v_add_f16_e32 v123, v27, v26
	v_add_f16_e32 v100, v84, v91
	v_sub_f16_e32 v108, v84, v91
	v_sub_f16_e32 v121, v23, v32
	v_mul_f16_e32 v102, 0xba95, v107
	v_mul_f16_e32 v96, 0xbbf1, v120
	v_fma_f16 v77, v122, s4, -v101
	v_fma_f16 v79, v99, s5, v95
	v_add_f16_e32 v76, v21, v76
	v_add_f16_e32 v124, v28, v25
	;; [unrolled: 1-line block ×3, first 2 shown]
	v_sub_f16_e32 v110, v85, v90
	v_mul_f16_e32 v103, 0xbbf1, v108
	v_mul_f16_e32 v97, 0xbb7b, v121
	v_fma_f16 v106, v123, s5, -v102
	v_fma_f16 v109, v100, s6, v96
	v_add_f16_e32 v77, v80, v77
	v_add_f16_e32 v76, v79, v76
	;; [unrolled: 1-line block ×3, first 2 shown]
	v_fma_f16 v111, v124, s6, -v103
	v_add_f16_e32 v77, v106, v77
	v_add_f16_e32 v76, v109, v76
	v_mul_f16_e32 v109, 0xbb7b, v110
	v_fma_f16 v79, v104, s7, v97
	v_sub_f16_e32 v126, v24, v31
	v_add_f16_e32 v77, v111, v77
	v_add_f16_e32 v76, v79, v76
	v_fma_f16 v79, v125, s7, -v109
	v_add_f16_e32 v113, v86, v89
	v_sub_f16_e32 v116, v86, v89
	v_mul_f16_e32 v106, 0xb94e, v126
	v_add_f16_e32 v77, v79, v77
	v_add_f16_e32 v128, v24, v31
	v_mul_f16_e32 v112, 0xb94e, v116
	v_fma_f16 v79, v113, s16, v106
	v_sub_f16_e32 v127, v29, v30
	v_add_f16_e32 v76, v79, v76
	v_fma_f16 v79, v128, s16, -v112
	v_add_f16_e32 v114, v87, v88
	v_mul_f16_e32 v111, 0xb3a8, v127
	v_sub_f16_e32 v117, v87, v88
	v_add_f16_e32 v77, v79, v77
	v_fma_f16 v79, v114, s17, v111
	v_add_f16_e32 v129, v29, v30
	v_mul_f16_e32 v115, 0xb3a8, v117
	v_add_f16_e32 v76, v79, v76
	v_fma_f16 v79, v129, s17, -v115
	v_add_f16_e32 v77, v79, v77
	v_lshlrev_b32_e32 v79, 2, v78
	v_lshlrev_b32_e32 v78, 3, v75
	s_and_saveexec_b64 s[0:1], vcc
	s_cbranch_execz .LBB0_5
; %bb.4:
	v_mul_f16_e32 v141, 0x388b, v122
	s_movk_i32 s27, 0x3a95
	v_fma_f16 v142, v105, s27, v141
	v_mul_f16_e32 v143, 0xb5ac, v123
	s_movk_i32 s24, 0x3b7b
	v_add_f16_e32 v142, v80, v142
	v_fma_f16 v144, v107, s24, v143
	v_add_f16_e32 v142, v144, v142
	v_mul_f16_e32 v144, 0xbbc4, v124
	s_movk_i32 s28, 0x33a8
	v_fma_f16 v145, v108, s28, v144
	v_add_f16_e32 v142, v145, v142
	v_mul_f16_e32 v145, 0xb9fd, v125
	v_fma_f16 v146, v110, s21, v145
	v_add_f16_e32 v142, v146, v142
	v_mul_f16_e32 v146, 0x2fb7, v128
	;; [unrolled: 3-line block ×4, first 2 shown]
	v_fma_f16 v149, v98, s5, v148
	v_mul_f16_e32 v150, 0xbb7b, v119
	v_add_f16_e32 v149, v21, v149
	v_fma_f16 v151, v99, s7, v150
	v_add_f16_e32 v149, v151, v149
	v_mul_f16_e32 v151, 0xb3a8, v120
	v_fma_f16 v152, v100, s17, v151
	v_add_f16_e32 v149, v152, v149
	v_mul_f16_e32 v152, 0x394e, v121
	;; [unrolled: 3-line block ×4, first 2 shown]
	v_fma_f16 v155, v114, s4, v154
	s_movk_i32 s25, 0x3bf1
	v_add_f16_e32 v149, v155, v149
	v_mul_f16_e32 v155, 0x2fb7, v122
	v_fma_f16 v156, v105, s25, v155
	v_mul_f16_e32 v157, 0xbbc4, v123
	v_add_f16_e32 v156, v80, v156
	v_fma_f16 v158, v107, s28, v157
	v_add_f16_e32 v156, v158, v156
	v_mul_f16_e32 v158, 0xb5ac, v124
	v_fma_f16 v159, v108, s19, v158
	v_add_f16_e32 v156, v159, v156
	v_mul_f16_e32 v159, 0x3b15, v125
	;; [unrolled: 3-line block ×3, first 2 shown]
	v_fma_f16 v161, v116, s27, v160
	s_movk_i32 s23, 0x394e
	v_add_f16_e32 v156, v161, v156
	v_mul_f16_e32 v161, 0xb9fd, v129
	v_fma_f16 v162, v117, s23, v161
	v_add_f16_e32 v156, v162, v156
	v_mul_f16_e32 v162, 0xbbf1, v118
	v_fma_f16 v163, v98, s6, v162
	v_mul_f16_e32 v164, 0xb3a8, v119
	v_add_f16_e32 v163, v21, v163
	v_fma_f16 v165, v99, s17, v164
	v_add_f16_e32 v163, v165, v163
	v_mul_f16_e32 v165, 0x3b7b, v120
	v_fma_f16 v166, v100, s7, v165
	v_add_f16_e32 v163, v166, v163
	v_mul_f16_e32 v166, 0x3770, v121
	v_fma_f16 v167, v104, s4, v166
	v_add_f16_e32 v163, v167, v163
	v_mul_f16_e32 v167, 0xba95, v126
	v_fma_f16 v168, v113, s5, v167
	v_add_f16_e32 v163, v168, v163
	v_mul_f16_e32 v168, 0xb94e, v127
	v_fma_f16 v169, v114, s16, v168
	v_add_f16_e32 v163, v169, v163
	v_mul_f16_e32 v169, 0xb5ac, v122
	v_fma_f16 v170, v105, s24, v169
	v_mul_f16_e32 v171, 0xb9fd, v123
	v_add_f16_e32 v170, v80, v170
	v_fma_f16 v172, v107, s21, v171
	v_add_f16_e32 v170, v172, v170
	v_mul_f16_e32 v172, 0x3b15, v124
	v_fma_f16 v173, v108, s29, v172
	v_add_f16_e32 v170, v173, v170
	v_mul_f16_e32 v173, 0x2fb7, v125
	v_fma_f16 v174, v110, s25, v173
	v_add_f16_e32 v170, v174, v170
	v_mul_f16_e32 v174, 0xbbc4, v128
	v_fma_f16 v175, v116, s20, v174
	;; [unrolled: 18-line block ×5, first 2 shown]
	v_add_f16_e32 v191, v196, v191
	v_mul_f16_e32 v196, 0xbb7b, v127
	v_mul_f16_e32 v130, 0x3b15, v122
	v_fma_f16 v197, v114, s7, v196
	v_mul_f16_e32 v122, 0xbbc4, v122
	v_mul_f16_e32 v132, 0x388b, v123
	v_add_f16_e32 v191, v197, v191
	v_fma_f16 v197, v105, s28, v122
	v_mul_f16_e32 v123, 0x3b15, v123
	v_mul_f16_e32 v134, 0x2fb7, v124
	v_add_f16_e32 v197, v80, v197
	;; [unrolled: 4-line block ×5, first 2 shown]
	v_fma_f16 v198, v116, s24, v128
	v_mul_f16_e32 v129, 0x2fb7, v129
	v_add_f16_e32 v197, v198, v197
	v_fma_f16 v198, v117, s22, v129
	v_mul_f16_e32 v118, 0xb3a8, v118
	v_add_f16_e32 v197, v198, v197
	v_fma_f16 v198, v98, s17, v118
	v_mul_f16_e32 v119, 0x3770, v119
	v_fma_f16 v118, v98, s17, -v118
	v_fma_f16 v199, v99, s4, v119
	v_mul_f16_e32 v120, 0xb94e, v120
	v_add_f16_e32 v118, v21, v118
	v_fma_f16 v119, v99, s4, -v119
	v_mul_f16_e32 v121, 0x3a95, v121
	v_add_f16_e32 v118, v119, v118
	v_fma_f16 v119, v100, s16, -v120
	;; [unrolled: 3-line block ×4, first 2 shown]
	v_add_f16_e32 v118, v119, v118
	v_fma_f16 v119, v114, s6, -v127
	v_add_f16_e32 v198, v21, v198
	v_add_f16_e32 v118, v119, v118
	v_fma_f16 v119, v105, s21, v183
	v_add_f16_e32 v198, v199, v198
	v_fma_f16 v199, v100, s16, v120
	;; [unrolled: 2-line block ×4, first 2 shown]
	s_movk_i32 s26, 0x3770
	v_add_f16_e32 v119, v120, v119
	v_fma_f16 v120, v110, s28, v187
	v_add_f16_e32 v119, v120, v119
	v_fma_f16 v120, v116, s26, v188
	;; [unrolled: 2-line block ×3, first 2 shown]
	v_add_f16_e32 v119, v120, v119
	v_fma_f16 v120, v98, s16, -v190
	v_add_f16_e32 v198, v199, v198
	v_fma_f16 v199, v104, s5, v121
	v_fma_f16 v122, v105, s20, v122
	v_add_f16_e32 v120, v21, v120
	v_fma_f16 v121, v99, s6, -v192
	v_add_f16_e32 v122, v80, v122
	v_fma_f16 v123, v107, s26, v123
	v_add_f16_e32 v120, v121, v120
	v_fma_f16 v121, v100, s5, -v193
	v_add_f16_e32 v122, v123, v122
	;; [unrolled: 4-line block ×5, first 2 shown]
	v_fma_f16 v123, v117, s25, v129
	v_add_f16_e32 v120, v121, v120
	v_fma_f16 v121, v105, s19, v169
	v_add_f16_e32 v122, v123, v122
	v_add_f16_e32 v121, v80, v121
	v_fma_f16 v123, v107, s23, v171
	v_add_f16_e32 v121, v123, v121
	v_fma_f16 v123, v108, s26, v172
	v_add_f16_e32 v121, v123, v121
	v_fma_f16 v123, v110, s22, v173
	v_add_f16_e32 v121, v123, v121
	v_fma_f16 v123, v116, s28, v174
	v_add_f16_e32 v121, v123, v121
	v_fma_f16 v123, v117, s27, v175
	v_add_f16_e32 v121, v123, v121
	v_fma_f16 v123, v98, s7, -v176
	v_add_f16_e32 v123, v21, v123
	v_fma_f16 v124, v99, s16, -v178
	;; [unrolled: 2-line block ×6, first 2 shown]
	v_add_f16_e32 v123, v124, v123
	v_fma_f16 v124, v105, s22, v155
	v_add_f16_e32 v124, v80, v124
	v_fma_f16 v125, v107, s20, v157
	;; [unrolled: 2-line block ×5, first 2 shown]
	v_mul_f16_e32 v75, 0x3b15, v98
	v_add_f16_e32 v124, v125, v124
	v_fma_f16 v125, v117, s21, v161
	v_add_f16_e32 v124, v125, v124
	v_fma_f16 v125, v98, s6, -v162
	v_fma_f16 v98, v98, s5, -v148
	v_sub_f16_e32 v75, v75, v94
	v_mul_f16_e32 v131, 0x388b, v99
	v_add_f16_e32 v198, v199, v198
	v_fma_f16 v199, v113, s7, v126
	v_add_f16_e32 v125, v21, v125
	v_fma_f16 v126, v99, s17, -v164
	v_add_f16_e32 v98, v21, v98
	v_fma_f16 v99, v99, s7, -v150
	v_add_f16_e32 v75, v21, v75
	v_add_f16_e32 v21, v21, v81
	v_add_f16_e32 v22, v80, v22
	v_add_f16_e32 v98, v99, v98
	v_fma_f16 v99, v100, s17, -v151
	v_add_f16_e32 v21, v21, v83
	v_add_f16_e32 v22, v22, v27
	v_add_f16_e32 v98, v99, v98
	v_fma_f16 v99, v104, s16, -v152
	v_add_f16_e32 v21, v21, v84
	v_add_f16_e32 v22, v22, v28
	v_add_f16_e32 v98, v99, v98
	;; [unrolled: 4-line block ×4, first 2 shown]
	v_add_f16_e32 v99, v101, v130
	v_add_f16_e32 v21, v21, v87
	;; [unrolled: 1-line block ×3, first 2 shown]
	v_mul_f16_e32 v133, 0x2fb7, v100
	v_add_f16_e32 v125, v126, v125
	v_fma_f16 v126, v100, s7, -v165
	v_fma_f16 v105, v105, s18, v141
	v_add_f16_e32 v99, v80, v99
	v_add_f16_e32 v100, v102, v132
	v_sub_f16_e32 v94, v131, v95
	v_add_f16_e32 v21, v21, v88
	v_add_f16_e32 v22, v22, v30
	v_mul_f16_e32 v135, 0xb5ac, v104
	v_add_f16_e32 v105, v80, v105
	v_fma_f16 v107, v107, s19, v143
	v_add_f16_e32 v99, v100, v99
	v_add_f16_e32 v100, v103, v134
	;; [unrolled: 1-line block ×3, first 2 shown]
	v_sub_f16_e32 v94, v133, v96
	v_add_f16_e32 v21, v21, v89
	v_add_f16_e32 v22, v22, v31
	v_mul_f16_e32 v137, 0xb9fd, v113
	v_add_f16_e32 v105, v107, v105
	v_fma_f16 v107, v108, s20, v144
	v_add_f16_e32 v99, v100, v99
	v_add_f16_e32 v100, v109, v136
	;; [unrolled: 1-line block ×3, first 2 shown]
	v_sub_f16_e32 v94, v135, v97
	v_add_f16_e32 v21, v21, v90
	v_add_f16_e32 v22, v22, v32
	v_mul_f16_e32 v139, 0xbbc4, v114
	v_add_f16_e32 v125, v126, v125
	v_fma_f16 v126, v104, s4, -v166
	v_add_f16_e32 v105, v107, v105
	v_fma_f16 v107, v110, s23, v145
	v_add_f16_e32 v99, v100, v99
	v_add_f16_e32 v100, v112, v138
	;; [unrolled: 1-line block ×3, first 2 shown]
	v_sub_f16_e32 v94, v137, v106
	v_add_f16_e32 v21, v21, v91
	v_add_f16_e32 v22, v22, v25
	;; [unrolled: 1-line block ×3, first 2 shown]
	v_fma_f16 v126, v113, s5, -v167
	v_add_f16_e32 v105, v107, v105
	v_fma_f16 v107, v116, s25, v146
	v_add_f16_e32 v99, v100, v99
	v_add_f16_e32 v100, v115, v140
	;; [unrolled: 1-line block ×3, first 2 shown]
	v_sub_f16_e32 v94, v139, v111
	v_add_f16_e32 v21, v21, v92
	v_add_f16_e32 v22, v22, v26
	;; [unrolled: 1-line block ×3, first 2 shown]
	v_fma_f16 v126, v114, s16, -v168
	v_add_f16_e32 v105, v107, v105
	v_fma_f16 v107, v117, s26, v147
	v_add_f16_e32 v99, v100, v99
	v_add_f16_e32 v75, v94, v75
	;; [unrolled: 1-line block ×4, first 2 shown]
	v_mul_u32_u24_e32 v23, 0x9c, v55
	v_add_f16_e32 v125, v126, v125
	v_add_f16_e32 v105, v107, v105
	v_add_lshl_u32 v23, v23, v56, 2
	v_pack_b32_f16 v21, v21, v22
	v_pack_b32_f16 v22, v75, v99
	v_add_f16_e32 v198, v199, v198
	v_fma_f16 v199, v114, s6, v127
	ds_write2_b32 v23, v21, v22 offset1:12
	v_pack_b32_f16 v21, v98, v105
	v_pack_b32_f16 v22, v125, v124
	v_add_f16_e32 v198, v199, v198
	ds_write2_b32 v23, v21, v22 offset0:24 offset1:36
	v_pack_b32_f16 v21, v123, v121
	v_pack_b32_f16 v22, v120, v119
	ds_write2_b32 v23, v21, v22 offset0:48 offset1:60
	v_pack_b32_f16 v21, v118, v122
	v_pack_b32_f16 v22, v198, v197
	;; [unrolled: 3-line block ×4, first 2 shown]
	s_mov_b32 s4, 0x5040100
	ds_write2_b32 v23, v21, v22 offset0:120 offset1:132
	v_perm_b32 v21, v77, v76, s4
	ds_write_b32 v23, v21 offset:576
.LBB0_5:
	s_or_b64 exec, exec, s[0:1]
	s_movk_i32 s0, 0xffd9
	v_add_co_u32_e64 v23, s[0:1], s0, v52
	v_addc_co_u32_e64 v24, s[0:1], 0, -1, s[0:1]
	v_cmp_gt_u16_e64 s[0:1], 39, v52
	v_cndmask_b32_e64 v30, v24, v74, s[0:1]
	v_cndmask_b32_e64 v29, v23, v73, s[0:1]
	v_lshlrev_b64 v[23:24], 3, v[29:30]
	v_mov_b32_e32 v32, s15
	v_add_co_u32_e64 v27, s[0:1], s14, v23
	v_lshrrev_b16_e32 v23, 2, v33
	v_mul_u32_u24_e32 v23, 0xd21, v23
	v_lshrrev_b32_e32 v75, 17, v23
	v_mul_lo_u16_e32 v23, 0x9c, v75
	v_sub_u16_e32 v93, v33, v23
	v_addc_co_u32_e64 v28, s[0:1], v32, v24, s[0:1]
	v_lshlrev_b16_e32 v23, 3, v93
	v_add_co_u32_e64 v30, s[0:1], s14, v23
	s_waitcnt lgkmcnt(0)
	s_barrier
	global_load_dwordx2 v[21:22], v34, s[14:15] offset:616
	v_addc_co_u32_e64 v31, s[0:1], 0, v32, s[0:1]
	global_load_dwordx2 v[25:26], v[27:28], off offset:616
	global_load_dwordx2 v[23:24], v[30:31], off offset:616
	v_lshrrev_b16_e32 v27, 2, v36
	v_mul_u32_u24_e32 v27, 0xd21, v27
	v_lshrrev_b32_e32 v27, 17, v27
	v_mul_lo_u16_e32 v27, 0x9c, v27
	v_sub_u16_e32 v36, v36, v27
	v_lshlrev_b16_e32 v27, 3, v36
	v_add_co_u32_e64 v27, s[0:1], s14, v27
	v_addc_co_u32_e64 v28, s[0:1], 0, v32, s[0:1]
	global_load_dwordx2 v[27:28], v[27:28], off offset:616
	v_add_u32_e32 v80, 0x600, v54
	ds_read2_b32 v[30:31], v54 offset1:117
	v_add_u32_e32 v84, 0xe00, v54
	v_add_u32_e32 v81, 0x200, v54
	;; [unrolled: 1-line block ×4, first 2 shown]
	ds_read2_b32 v[73:74], v80 offset0:84 offset1:201
	ds_read2_b32 v[85:86], v84 offset0:40 offset1:157
	;; [unrolled: 1-line block ×5, first 2 shown]
	s_waitcnt lgkmcnt(4)
	v_lshrrev_b32_e32 v95, 16, v73
	v_lshrrev_b32_e32 v97, 16, v74
	s_waitcnt lgkmcnt(3)
	v_lshrrev_b32_e32 v96, 16, v85
	s_waitcnt lgkmcnt(1)
	v_lshrrev_b32_e32 v100, 16, v89
	v_lshrrev_b32_e32 v103, 16, v90
	s_waitcnt lgkmcnt(0)
	v_lshrrev_b32_e32 v104, 16, v92
	v_lshrrev_b32_e32 v98, 16, v86
	;; [unrolled: 1-line block ×4, first 2 shown]
	s_movk_i32 s4, 0x3aee
	s_mov_b32 s5, 0xbaee
	v_lshrrev_b32_e32 v94, 16, v31
	v_lshrrev_b32_e32 v99, 16, v87
	;; [unrolled: 1-line block ×3, first 2 shown]
	s_waitcnt vmcnt(0)
	s_barrier
	v_cmp_lt_u16_e64 s[0:1], 38, v52
	s_movk_i32 s6, 0x1d4
	v_mul_f16_sdwa v105, v95, v21 dst_sel:DWORD dst_unused:UNUSED_PAD src0_sel:DWORD src1_sel:WORD_1
	v_mul_f16_sdwa v106, v73, v21 dst_sel:DWORD dst_unused:UNUSED_PAD src0_sel:DWORD src1_sel:WORD_1
	v_fma_f16 v73, v73, v21, -v105
	v_mul_f16_sdwa v105, v97, v25 dst_sel:DWORD dst_unused:UNUSED_PAD src0_sel:DWORD src1_sel:WORD_1
	v_fma_f16 v95, v95, v21, v106
	v_mul_f16_sdwa v106, v74, v25 dst_sel:DWORD dst_unused:UNUSED_PAD src0_sel:DWORD src1_sel:WORD_1
	v_fma_f16 v74, v74, v25, -v105
	v_mul_f16_sdwa v105, v100, v23 dst_sel:DWORD dst_unused:UNUSED_PAD src0_sel:DWORD src1_sel:WORD_1
	v_mul_f16_sdwa v107, v96, v22 dst_sel:DWORD dst_unused:UNUSED_PAD src0_sel:DWORD src1_sel:WORD_1
	v_fma_f16 v97, v97, v25, v106
	v_mul_f16_sdwa v106, v89, v23 dst_sel:DWORD dst_unused:UNUSED_PAD src0_sel:DWORD src1_sel:WORD_1
	v_fma_f16 v89, v89, v23, -v105
	v_mul_f16_sdwa v108, v85, v22 dst_sel:DWORD dst_unused:UNUSED_PAD src0_sel:DWORD src1_sel:WORD_1
	v_fma_f16 v85, v85, v22, -v107
	;; [unrolled: 2-line block ×3, first 2 shown]
	v_mul_f16_sdwa v90, v90, v27 dst_sel:DWORD dst_unused:UNUSED_PAD src0_sel:DWORD src1_sel:WORD_1
	v_fma_f16 v90, v103, v27, v90
	v_mul_f16_sdwa v103, v104, v28 dst_sel:DWORD dst_unused:UNUSED_PAD src0_sel:DWORD src1_sel:WORD_1
	v_fma_f16 v96, v96, v22, v108
	;; [unrolled: 2-line block ×3, first 2 shown]
	v_fma_f16 v103, v92, v28, -v103
	v_mul_f16_sdwa v92, v92, v28 dst_sel:DWORD dst_unused:UNUSED_PAD src0_sel:DWORD src1_sel:WORD_1
	v_add_f16_e32 v106, v73, v85
	v_mul_f16_sdwa v108, v86, v26 dst_sel:DWORD dst_unused:UNUSED_PAD src0_sel:DWORD src1_sel:WORD_1
	v_fma_f16 v86, v86, v26, -v107
	v_mul_f16_sdwa v107, v101, v24 dst_sel:DWORD dst_unused:UNUSED_PAD src0_sel:DWORD src1_sel:WORD_1
	v_fma_f16 v92, v104, v28, v92
	v_add_f16_e32 v104, v30, v73
	v_fma_f16 v30, v106, -0.5, v30
	v_sub_f16_e32 v106, v95, v96
	v_fma_f16 v98, v98, v26, v108
	v_mul_f16_sdwa v108, v91, v24 dst_sel:DWORD dst_unused:UNUSED_PAD src0_sel:DWORD src1_sel:WORD_1
	v_fma_f16 v91, v91, v24, -v107
	v_fma_f16 v107, v106, s4, v30
	v_fma_f16 v30, v106, s5, v30
	v_add_f16_e32 v106, v32, v95
	v_add_f16_e32 v95, v95, v96
	v_fma_f16 v32, v95, -0.5, v32
	v_sub_f16_e32 v73, v73, v85
	v_add_f16_e32 v104, v104, v85
	v_fma_f16 v85, v73, s5, v32
	v_fma_f16 v32, v73, s4, v32
	v_add_f16_e32 v73, v31, v74
	v_add_f16_e32 v95, v73, v86
	;; [unrolled: 1-line block ×3, first 2 shown]
	v_fma_f16 v31, v73, -0.5, v31
	v_sub_f16_e32 v73, v97, v98
	v_add_f16_e32 v106, v106, v96
	v_fma_f16 v96, v73, s4, v31
	v_fma_f16 v31, v73, s5, v31
	v_add_f16_e32 v73, v94, v97
	v_fma_f16 v101, v101, v24, v108
	v_add_f16_e32 v108, v73, v98
	v_add_f16_e32 v73, v97, v98
	v_fma_f16 v73, v73, -0.5, v94
	v_sub_f16_e32 v74, v74, v86
	v_fma_f16 v86, v74, s5, v73
	v_fma_f16 v74, v74, s4, v73
	v_add_f16_e32 v73, v87, v89
	v_add_f16_e32 v94, v73, v91
	v_add_f16_e32 v73, v89, v91
	v_fma_f16 v73, v73, -0.5, v87
	v_sub_f16_e32 v87, v100, v101
	v_fma_f16 v97, v87, s4, v73
	v_fma_f16 v87, v87, s5, v73
	v_add_f16_e32 v73, v99, v100
	;; [unrolled: 7-line block ×4, first 2 shown]
	v_add_f16_e32 v101, v73, v92
	v_add_f16_e32 v73, v90, v92
	v_pack_b32_f16 v30, v30, v32
	v_fma_f16 v73, v73, -0.5, v102
	v_sub_f16_e32 v90, v105, v103
	ds_write_b32 v54, v30 offset:1248
	v_mov_b32_e32 v30, 0x1d4
	v_fma_f16 v92, v90, s5, v73
	v_fma_f16 v90, v90, s4, v73
	v_pack_b32_f16 v73, v104, v106
	v_pack_b32_f16 v85, v107, v85
	v_cndmask_b32_e64 v30, 0, v30, s[0:1]
	ds_write2_b32 v54, v73, v85 offset1:156
	v_add_lshl_u32 v73, v29, v30, 2
	v_pack_b32_f16 v29, v95, v108
	v_pack_b32_f16 v30, v96, v86
	ds_write2_b32 v73, v29, v30 offset1:156
	v_pack_b32_f16 v29, v31, v74
	ds_write_b32 v73, v29 offset:1248
	v_mad_legacy_u16 v29, v75, s6, v93
	v_lshlrev_b32_e32 v74, 2, v29
	v_pack_b32_f16 v29, v94, v98
	v_pack_b32_f16 v30, v97, v91
	ds_write2_b32 v74, v29, v30 offset1:156
	v_pack_b32_f16 v29, v87, v89
	v_lshlrev_b32_e32 v75, 2, v36
	ds_write_b32 v74, v29 offset:1248
	v_pack_b32_f16 v29, v99, v101
	v_pack_b32_f16 v30, v100, v92
	v_add_u32_e32 v31, 0xe00, v75
	ds_write2_b32 v31, v29, v30 offset0:40 offset1:196
	v_pack_b32_f16 v29, v88, v90
	ds_write_b32 v75, v29 offset:4992
	s_waitcnt lgkmcnt(0)
	s_barrier
	global_load_dwordx2 v[29:30], v34, s[14:15] offset:1864
	v_lshlrev_b32_e32 v31, 2, v35
	global_load_dwordx2 v[31:32], v31, s[14:15] offset:1864
	v_lshlrev_b32_e32 v85, 3, v33
	global_load_dwordx2 v[33:34], v85, s[14:15] offset:1864
	global_load_dwordx2 v[35:36], v58, s[14:15] offset:1864
	ds_read2_b32 v[85:86], v54 offset1:117
	ds_read2_b32 v[87:88], v80 offset0:84 offset1:201
	ds_read2_b32 v[89:90], v84 offset0:40 offset1:157
	v_lshlrev_b32_e32 v91, 2, v52
	v_mov_b32_e32 v92, s13
	v_add_co_u32_e64 v97, s[0:1], s12, v91
	s_waitcnt lgkmcnt(1)
	v_lshrrev_b32_e32 v100, 16, v87
	s_waitcnt lgkmcnt(0)
	v_lshrrev_b32_e32 v101, 16, v89
	v_addc_co_u32_e64 v98, s[0:1], 0, v92, s[0:1]
	ds_read2_b32 v[91:92], v81 offset0:106 offset1:223
	ds_read2_b32 v[93:94], v83 offset0:62 offset1:179
	;; [unrolled: 1-line block ×3, first 2 shown]
	v_lshrrev_b32_e32 v103, 16, v88
	v_lshrrev_b32_e32 v104, 16, v90
	;; [unrolled: 1-line block ×3, first 2 shown]
	s_waitcnt lgkmcnt(1)
	v_lshrrev_b32_e32 v106, 16, v93
	s_waitcnt lgkmcnt(0)
	v_lshrrev_b32_e32 v107, 16, v95
	v_lshrrev_b32_e32 v109, 16, v94
	;; [unrolled: 1-line block ×6, first 2 shown]
	s_movk_i32 s0, 0x1000
	s_waitcnt vmcnt(3)
	v_mul_f16_sdwa v111, v100, v29 dst_sel:DWORD dst_unused:UNUSED_PAD src0_sel:DWORD src1_sel:WORD_1
	v_fma_f16 v111, v87, v29, -v111
	v_mul_f16_sdwa v87, v87, v29 dst_sel:DWORD dst_unused:UNUSED_PAD src0_sel:DWORD src1_sel:WORD_1
	v_fma_f16 v87, v100, v29, v87
	v_mul_f16_sdwa v100, v101, v30 dst_sel:DWORD dst_unused:UNUSED_PAD src0_sel:DWORD src1_sel:WORD_1
	v_fma_f16 v100, v89, v30, -v100
	v_mul_f16_sdwa v89, v89, v30 dst_sel:DWORD dst_unused:UNUSED_PAD src0_sel:DWORD src1_sel:WORD_1
	v_fma_f16 v89, v101, v30, v89
	s_waitcnt vmcnt(2)
	v_mul_f16_sdwa v101, v103, v31 dst_sel:DWORD dst_unused:UNUSED_PAD src0_sel:DWORD src1_sel:WORD_1
	v_fma_f16 v101, v88, v31, -v101
	v_mul_f16_sdwa v88, v88, v31 dst_sel:DWORD dst_unused:UNUSED_PAD src0_sel:DWORD src1_sel:WORD_1
	v_fma_f16 v88, v103, v31, v88
	v_mul_f16_sdwa v103, v104, v32 dst_sel:DWORD dst_unused:UNUSED_PAD src0_sel:DWORD src1_sel:WORD_1
	v_fma_f16 v103, v90, v32, -v103
	v_mul_f16_sdwa v90, v90, v32 dst_sel:DWORD dst_unused:UNUSED_PAD src0_sel:DWORD src1_sel:WORD_1
	v_fma_f16 v90, v104, v32, v90
	;; [unrolled: 9-line block ×3, first 2 shown]
	s_waitcnt vmcnt(0)
	v_mul_f16_sdwa v107, v109, v35 dst_sel:DWORD dst_unused:UNUSED_PAD src0_sel:DWORD src1_sel:WORD_1
	v_fma_f16 v107, v94, v35, -v107
	v_mul_f16_sdwa v94, v94, v35 dst_sel:DWORD dst_unused:UNUSED_PAD src0_sel:DWORD src1_sel:WORD_1
	v_fma_f16 v94, v109, v35, v94
	v_mul_f16_sdwa v109, v110, v36 dst_sel:DWORD dst_unused:UNUSED_PAD src0_sel:DWORD src1_sel:WORD_1
	v_fma_f16 v109, v96, v36, -v109
	v_mul_f16_sdwa v96, v96, v36 dst_sel:DWORD dst_unused:UNUSED_PAD src0_sel:DWORD src1_sel:WORD_1
	v_add_f16_e32 v112, v111, v100
	v_fma_f16 v96, v110, v36, v96
	v_add_f16_e32 v110, v85, v111
	v_fma_f16 v85, v112, -0.5, v85
	v_sub_f16_e32 v112, v87, v89
	v_fma_f16 v113, v112, s4, v85
	v_fma_f16 v85, v112, s5, v85
	v_add_f16_e32 v112, v99, v87
	v_add_f16_e32 v87, v87, v89
	;; [unrolled: 1-line block ×4, first 2 shown]
	v_fma_f16 v87, v87, -0.5, v99
	v_sub_f16_e32 v89, v111, v100
	v_add_f16_e32 v100, v101, v103
	v_fma_f16 v99, v89, s5, v87
	v_fma_f16 v87, v89, s4, v87
	v_add_f16_e32 v89, v86, v101
	v_fma_f16 v86, v100, -0.5, v86
	v_sub_f16_e32 v100, v88, v90
	v_fma_f16 v111, v100, s4, v86
	v_fma_f16 v86, v100, s5, v86
	v_add_f16_e32 v100, v102, v88
	v_add_f16_e32 v88, v88, v90
	;; [unrolled: 1-line block ×3, first 2 shown]
	v_fma_f16 v88, v88, -0.5, v102
	v_sub_f16_e32 v90, v101, v103
	v_add_f16_e32 v102, v104, v106
	v_fma_f16 v101, v90, s5, v88
	v_fma_f16 v88, v90, s4, v88
	v_add_f16_e32 v90, v91, v104
	v_fma_f16 v91, v102, -0.5, v91
	v_sub_f16_e32 v102, v93, v95
	v_add_f16_e32 v89, v89, v103
	v_fma_f16 v103, v102, s4, v91
	v_fma_f16 v91, v102, s5, v91
	v_add_f16_e32 v102, v105, v93
	v_add_f16_e32 v93, v93, v95
	;; [unrolled: 1-line block ×3, first 2 shown]
	v_fma_f16 v93, v93, -0.5, v105
	v_sub_f16_e32 v95, v104, v106
	v_add_f16_e32 v105, v107, v109
	v_fma_f16 v104, v95, s5, v93
	v_fma_f16 v93, v95, s4, v93
	v_add_f16_e32 v95, v92, v107
	v_fma_f16 v92, v105, -0.5, v92
	v_sub_f16_e32 v105, v94, v96
	v_add_f16_e32 v90, v90, v106
	v_fma_f16 v106, v105, s4, v92
	v_fma_f16 v92, v105, s5, v92
	v_add_f16_e32 v105, v108, v94
	v_add_f16_e32 v94, v94, v96
	v_add_f16_e32 v105, v105, v96
	v_fma_f16 v94, v94, -0.5, v108
	v_sub_f16_e32 v96, v107, v109
	v_pack_b32_f16 v85, v85, v87
	v_fma_f16 v107, v96, s5, v94
	v_fma_f16 v94, v96, s4, v94
	v_pack_b32_f16 v96, v110, v112
	v_pack_b32_f16 v99, v113, v99
	ds_write_b32 v54, v85 offset:3744
	v_pack_b32_f16 v85, v89, v100
	ds_write_b32 v54, v99 offset:1872
	ds_write2_b32 v54, v96, v85 offset1:117
	v_pack_b32_f16 v85, v86, v88
	v_add_f16_e32 v95, v95, v109
	v_pack_b32_f16 v87, v111, v101
	ds_write_b32 v54, v85 offset:4212
	v_pack_b32_f16 v88, v103, v104
	v_add_u32_e32 v85, 0x800, v54
	v_pack_b32_f16 v86, v90, v102
	ds_write2_b32 v85, v87, v88 offset0:73 offset1:190
	v_pack_b32_f16 v88, v95, v105
	ds_write2_b32 v81, v86, v88 offset0:106 offset1:223
	v_pack_b32_f16 v86, v106, v107
	v_pack_b32_f16 v87, v91, v93
	ds_write_b32 v54, v86 offset:3276
	v_pack_b32_f16 v86, v92, v94
	ds_write2_b32 v82, v87, v86 offset0:18 offset1:135
	v_add_co_u32_e64 v86, s[0:1], s0, v97
	v_addc_co_u32_e64 v87, s[0:1], 0, v98, s[0:1]
	s_waitcnt lgkmcnt(0)
	s_barrier
	global_load_dword v92, v[86:87], off offset:1520
	s_movk_i32 s0, 0x15f0
	v_add_co_u32_e64 v86, s[0:1], s0, v97
	v_addc_co_u32_e64 v87, s[0:1], 0, v98, s[0:1]
	global_load_dword v93, v[86:87], off offset:2808
	global_load_dword v94, v[86:87], off offset:468
	;; [unrolled: 1-line block ×6, first 2 shown]
	s_movk_i32 s0, 0x2000
	v_add_co_u32_e64 v88, s[0:1], s0, v97
	v_addc_co_u32_e64 v89, s[0:1], 0, v98, s[0:1]
	global_load_dword v97, v[88:89], off offset:1636
	global_load_dword v98, v[86:87], off offset:1872
	;; [unrolled: 1-line block ×5, first 2 shown]
	ds_read2_b32 v[90:91], v54 offset1:117
	s_waitcnt lgkmcnt(0)
	v_lshrrev_b32_e32 v86, 16, v90
	s_waitcnt vmcnt(11)
	v_mul_f16_sdwa v87, v86, v92 dst_sel:DWORD dst_unused:UNUSED_PAD src0_sel:DWORD src1_sel:WORD_1
	v_mul_f16_sdwa v88, v90, v92 dst_sel:DWORD dst_unused:UNUSED_PAD src0_sel:DWORD src1_sel:WORD_1
	v_fma_f16 v87, v90, v92, -v87
	v_fma_f16 v86, v86, v92, v88
	v_pack_b32_f16 v86, v87, v86
	ds_write_b32 v54, v86
	ds_read2_b32 v[86:87], v83 offset0:62 offset1:179
	s_waitcnt lgkmcnt(0)
	v_lshrrev_b32_e32 v88, 16, v86
	s_waitcnt vmcnt(10)
	v_mul_f16_sdwa v89, v88, v93 dst_sel:DWORD dst_unused:UNUSED_PAD src0_sel:DWORD src1_sel:WORD_1
	v_fma_f16 v89, v86, v93, -v89
	v_mul_f16_sdwa v86, v86, v93 dst_sel:DWORD dst_unused:UNUSED_PAD src0_sel:DWORD src1_sel:WORD_1
	v_fma_f16 v86, v88, v93, v86
	v_pack_b32_f16 v90, v89, v86
	v_lshrrev_b32_e32 v86, 16, v91
	s_waitcnt vmcnt(9)
	v_mul_f16_sdwa v88, v86, v94 dst_sel:DWORD dst_unused:UNUSED_PAD src0_sel:DWORD src1_sel:WORD_1
	v_mul_f16_sdwa v89, v91, v94 dst_sel:DWORD dst_unused:UNUSED_PAD src0_sel:DWORD src1_sel:WORD_1
	v_fma_f16 v88, v91, v94, -v88
	v_fma_f16 v86, v86, v94, v89
	v_pack_b32_f16 v91, v88, v86
	ds_read2_b32 v[88:89], v81 offset0:106 offset1:223
	v_lshrrev_b32_e32 v86, 16, v87
	s_waitcnt vmcnt(8)
	v_mul_f16_sdwa v92, v86, v95 dst_sel:DWORD dst_unused:UNUSED_PAD src0_sel:DWORD src1_sel:WORD_1
	v_fma_f16 v92, v87, v95, -v92
	v_mul_f16_sdwa v87, v87, v95 dst_sel:DWORD dst_unused:UNUSED_PAD src0_sel:DWORD src1_sel:WORD_1
	v_fma_f16 v86, v86, v95, v87
	s_waitcnt lgkmcnt(0)
	v_lshrrev_b32_e32 v93, 16, v88
	v_pack_b32_f16 v92, v92, v86
	s_waitcnt vmcnt(7)
	v_mul_f16_sdwa v86, v93, v96 dst_sel:DWORD dst_unused:UNUSED_PAD src0_sel:DWORD src1_sel:WORD_1
	v_fma_f16 v94, v88, v96, -v86
	ds_read2_b32 v[86:87], v84 offset0:40 offset1:157
	v_mul_f16_sdwa v88, v88, v96 dst_sel:DWORD dst_unused:UNUSED_PAD src0_sel:DWORD src1_sel:WORD_1
	v_fma_f16 v88, v93, v96, v88
	v_pack_b32_f16 v88, v94, v88
	ds_write2_b32 v54, v91, v88 offset0:117 offset1:234
	s_waitcnt lgkmcnt(1)
	v_lshrrev_b32_e32 v88, 16, v86
	s_waitcnt vmcnt(6)
	v_mul_f16_sdwa v91, v88, v99 dst_sel:DWORD dst_unused:UNUSED_PAD src0_sel:DWORD src1_sel:WORD_1
	v_fma_f16 v91, v86, v99, -v91
	v_mul_f16_sdwa v86, v86, v99 dst_sel:DWORD dst_unused:UNUSED_PAD src0_sel:DWORD src1_sel:WORD_1
	v_fma_f16 v86, v88, v99, v86
	v_pack_b32_f16 v88, v91, v86
	v_add_u32_e32 v86, 0xc00, v54
	ds_write2_b32 v86, v92, v88 offset0:51 offset1:168
	v_lshrrev_b32_e32 v88, 16, v89
	s_waitcnt vmcnt(5)
	v_mul_f16_sdwa v91, v88, v100 dst_sel:DWORD dst_unused:UNUSED_PAD src0_sel:DWORD src1_sel:WORD_1
	v_fma_f16 v91, v89, v100, -v91
	v_mul_f16_sdwa v89, v89, v100 dst_sel:DWORD dst_unused:UNUSED_PAD src0_sel:DWORD src1_sel:WORD_1
	v_fma_f16 v88, v88, v100, v89
	v_pack_b32_f16 v91, v91, v88
	ds_read2_b32 v[88:89], v80 offset0:84 offset1:201
	v_lshrrev_b32_e32 v92, 16, v87
	s_waitcnt vmcnt(4)
	v_mul_f16_sdwa v93, v92, v97 dst_sel:DWORD dst_unused:UNUSED_PAD src0_sel:DWORD src1_sel:WORD_1
	v_fma_f16 v93, v87, v97, -v93
	v_mul_f16_sdwa v87, v87, v97 dst_sel:DWORD dst_unused:UNUSED_PAD src0_sel:DWORD src1_sel:WORD_1
	v_fma_f16 v87, v92, v97, v87
	v_pack_b32_f16 v92, v93, v87
	s_waitcnt lgkmcnt(0)
	v_lshrrev_b32_e32 v93, 16, v88
	s_waitcnt vmcnt(3)
	v_mul_f16_sdwa v87, v93, v98 dst_sel:DWORD dst_unused:UNUSED_PAD src0_sel:DWORD src1_sel:WORD_1
	v_fma_f16 v94, v88, v98, -v87
	v_mul_f16_sdwa v95, v88, v98 dst_sel:DWORD dst_unused:UNUSED_PAD src0_sel:DWORD src1_sel:WORD_1
	ds_read2_b32 v[87:88], v82 offset0:18 offset1:135
	v_fma_f16 v93, v93, v98, v95
	v_pack_b32_f16 v93, v94, v93
	v_add_u32_e32 v94, 0x400, v54
	ds_write2_b32 v94, v91, v93 offset0:95 offset1:212
	s_waitcnt lgkmcnt(1)
	v_lshrrev_b32_e32 v91, 16, v87
	s_waitcnt vmcnt(2)
	v_mul_f16_sdwa v93, v91, v101 dst_sel:DWORD dst_unused:UNUSED_PAD src0_sel:DWORD src1_sel:WORD_1
	v_fma_f16 v93, v87, v101, -v93
	v_mul_f16_sdwa v87, v87, v101 dst_sel:DWORD dst_unused:UNUSED_PAD src0_sel:DWORD src1_sel:WORD_1
	v_fma_f16 v87, v91, v101, v87
	v_pack_b32_f16 v91, v93, v87
	v_add_u32_e32 v87, 0x1000, v54
	ds_write2_b32 v87, v92, v91 offset0:29 offset1:146
	v_lshrrev_b32_e32 v91, 16, v89
	s_waitcnt vmcnt(1)
	v_mul_f16_sdwa v92, v91, v102 dst_sel:DWORD dst_unused:UNUSED_PAD src0_sel:DWORD src1_sel:WORD_1
	v_fma_f16 v92, v89, v102, -v92
	v_mul_f16_sdwa v89, v89, v102 dst_sel:DWORD dst_unused:UNUSED_PAD src0_sel:DWORD src1_sel:WORD_1
	v_fma_f16 v89, v91, v102, v89
	v_pack_b32_f16 v89, v92, v89
	ds_write2_b32 v85, v89, v90 offset0:73 offset1:190
	v_lshrrev_b32_e32 v89, 16, v88
	s_waitcnt vmcnt(0)
	v_mul_f16_sdwa v90, v89, v103 dst_sel:DWORD dst_unused:UNUSED_PAD src0_sel:DWORD src1_sel:WORD_1
	v_fma_f16 v90, v88, v103, -v90
	v_mul_f16_sdwa v88, v88, v103 dst_sel:DWORD dst_unused:UNUSED_PAD src0_sel:DWORD src1_sel:WORD_1
	v_fma_f16 v88, v89, v103, v88
	v_pack_b32_f16 v88, v90, v88
	ds_write_b32 v54, v88 offset:5148
	s_waitcnt lgkmcnt(0)
	s_barrier
	ds_read2_b32 v[88:89], v54 offset1:117
	ds_read2_b32 v[90:91], v83 offset0:62 offset1:179
	ds_read2_b32 v[94:95], v81 offset0:106 offset1:223
	ds_read2_b32 v[96:97], v84 offset0:40 offset1:157
	ds_read2_b32 v[98:99], v80 offset0:84 offset1:201
	ds_read2_b32 v[100:101], v82 offset0:18 offset1:135
	s_waitcnt lgkmcnt(0)
	s_barrier
	v_pk_add_f16 v93, v88, v90 neg_lo:[0,1] neg_hi:[0,1]
	v_pk_fma_f16 v92, v88, 2.0, v93 op_sel_hi:[1,0,1] neg_lo:[0,0,1] neg_hi:[0,0,1]
	v_pk_add_f16 v105, v98, v100 neg_lo:[0,1] neg_hi:[0,1]
	v_pk_add_f16 v90, v89, v91 neg_lo:[0,1] neg_hi:[0,1]
	;; [unrolled: 1-line block ×4, first 2 shown]
	v_pk_fma_f16 v104, v98, 2.0, v105 op_sel_hi:[1,0,1] neg_lo:[0,0,1] neg_hi:[0,0,1]
	v_pk_add_f16 v98, v99, v101 neg_lo:[0,1] neg_hi:[0,1]
	v_pk_fma_f16 v89, v89, 2.0, v90 op_sel_hi:[1,0,1] neg_lo:[0,0,1] neg_hi:[0,0,1]
	v_pk_fma_f16 v102, v94, 2.0, v103 op_sel_hi:[1,0,1] neg_lo:[0,0,1] neg_hi:[0,0,1]
	;; [unrolled: 1-line block ×4, first 2 shown]
	ds_write_b64 v39, v[92:93]
	ds_write_b64 v40, v[89:90]
	;; [unrolled: 1-line block ×6, first 2 shown]
	s_waitcnt lgkmcnt(0)
	s_barrier
	ds_read2_b32 v[39:40], v54 offset1:117
	ds_read2_b32 v[57:58], v83 offset0:62 offset1:179
	ds_read2_b32 v[88:89], v84 offset0:40 offset1:157
	ds_read2_b32 v[78:79], v81 offset0:106 offset1:223
	ds_read2_b32 v[90:91], v80 offset0:84 offset1:201
	ds_read2_b32 v[92:93], v82 offset0:18 offset1:135
	s_waitcnt lgkmcnt(5)
	v_lshrrev_b32_e32 v94, 16, v39
	s_waitcnt lgkmcnt(4)
	v_lshrrev_b32_e32 v95, 16, v57
	v_mul_f16_sdwa v106, v37, v95 dst_sel:DWORD dst_unused:UNUSED_PAD src0_sel:WORD_1 src1_sel:DWORD
	v_lshrrev_b32_e32 v97, 16, v58
	v_fma_f16 v106, v37, v57, v106
	v_mul_f16_sdwa v57, v37, v57 dst_sel:DWORD dst_unused:UNUSED_PAD src0_sel:WORD_1 src1_sel:DWORD
	v_fma_f16 v57, v37, v95, -v57
	v_mul_f16_sdwa v95, v38, v97 dst_sel:DWORD dst_unused:UNUSED_PAD src0_sel:WORD_1 src1_sel:DWORD
	s_waitcnt lgkmcnt(3)
	v_lshrrev_b32_e32 v99, 16, v88
	v_lshrrev_b32_e32 v101, 16, v89
	v_fma_f16 v95, v59, v58, v95
	v_mul_f16_sdwa v58, v38, v58 dst_sel:DWORD dst_unused:UNUSED_PAD src0_sel:WORD_1 src1_sel:DWORD
	s_waitcnt lgkmcnt(0)
	v_lshrrev_b32_e32 v103, 16, v92
	v_fma_f16 v58, v59, v97, -v58
	v_mul_f16_sdwa v59, v37, v99 dst_sel:DWORD dst_unused:UNUSED_PAD src0_sel:WORD_1 src1_sel:DWORD
	v_mul_f16_e32 v97, v60, v101
	v_mul_f16_e32 v60, v60, v89
	v_lshrrev_b32_e32 v105, 16, v93
	v_fma_f16 v59, v37, v88, v59
	v_mul_f16_sdwa v88, v37, v88 dst_sel:DWORD dst_unused:UNUSED_PAD src0_sel:WORD_1 src1_sel:DWORD
	v_fma_f16 v97, v63, v89, v97
	v_fma_f16 v60, v63, v101, -v60
	v_mul_f16_sdwa v63, v37, v103 dst_sel:DWORD dst_unused:UNUSED_PAD src0_sel:WORD_1 src1_sel:DWORD
	v_mul_f16_sdwa v89, v37, v92 dst_sel:DWORD dst_unused:UNUSED_PAD src0_sel:WORD_1 src1_sel:DWORD
	v_fma_f16 v88, v37, v99, -v88
	v_fma_f16 v63, v37, v92, v63
	v_fma_f16 v37, v37, v103, -v89
	v_mul_f16_e32 v89, v62, v105
	v_mul_f16_e32 v62, v62, v93
	v_lshrrev_b32_e32 v96, 16, v40
	v_fma_f16 v89, v38, v93, v89
	v_fma_f16 v38, v38, v105, -v62
	v_sub_f16_e32 v62, v39, v106
	v_sub_f16_e32 v57, v94, v57
	v_lshrrev_b32_e32 v98, 16, v78
	v_fma_f16 v39, v39, 2.0, -v62
	v_fma_f16 v92, v94, 2.0, -v57
	v_sub_f16_e32 v93, v40, v95
	v_sub_f16_e32 v58, v96, v58
	v_lshrrev_b32_e32 v100, 16, v79
	v_fma_f16 v40, v40, 2.0, -v93
	v_fma_f16 v94, v96, 2.0, -v58
	v_sub_f16_e32 v59, v78, v59
	v_sub_f16_e32 v88, v98, v88
	v_pack_b32_f16 v39, v39, v92
	v_pack_b32_f16 v57, v62, v57
	v_lshrrev_b32_e32 v102, 16, v90
	v_fma_f16 v78, v78, 2.0, -v59
	v_fma_f16 v95, v98, 2.0, -v88
	v_sub_f16_e32 v96, v79, v97
	v_sub_f16_e32 v60, v100, v60
	s_barrier
	ds_write2_b32 v61, v39, v57 offset1:2
	v_pack_b32_f16 v39, v40, v94
	v_pack_b32_f16 v40, v93, v58
	v_lshrrev_b32_e32 v104, 16, v91
	v_fma_f16 v79, v79, 2.0, -v96
	v_fma_f16 v97, v100, 2.0, -v60
	v_sub_f16_e32 v63, v90, v63
	v_sub_f16_e32 v37, v102, v37
	ds_write2_b32 v64, v39, v40 offset1:2
	v_pack_b32_f16 v39, v78, v95
	v_pack_b32_f16 v40, v59, v88
	v_fma_f16 v90, v90, 2.0, -v63
	v_fma_f16 v98, v102, 2.0, -v37
	v_sub_f16_e32 v89, v91, v89
	v_sub_f16_e32 v38, v104, v38
	ds_write2_b32 v65, v39, v40 offset1:2
	v_pack_b32_f16 v39, v79, v97
	v_pack_b32_f16 v40, v96, v60
	v_fma_f16 v91, v91, 2.0, -v89
	v_fma_f16 v99, v104, 2.0, -v38
	ds_write2_b32 v66, v39, v40 offset1:2
	v_pack_b32_f16 v39, v90, v98
	v_pack_b32_f16 v37, v63, v37
	ds_write2_b32 v67, v39, v37 offset1:2
	v_pack_b32_f16 v37, v91, v99
	v_pack_b32_f16 v38, v89, v38
	ds_write2_b32 v68, v37, v38 offset1:2
	s_waitcnt lgkmcnt(0)
	s_barrier
	ds_read2_b32 v[37:38], v54 offset1:117
	ds_read2_b32 v[39:40], v80 offset0:84 offset1:201
	ds_read2_b32 v[57:58], v84 offset0:40 offset1:157
	;; [unrolled: 1-line block ×5, first 2 shown]
	s_waitcnt lgkmcnt(0)
	v_lshrrev_b32_e32 v63, 16, v37
	v_lshrrev_b32_e32 v64, 16, v39
	v_mul_f16_sdwa v91, v19, v64 dst_sel:DWORD dst_unused:UNUSED_PAD src0_sel:WORD_1 src1_sel:DWORD
	v_lshrrev_b32_e32 v67, 16, v57
	v_fma_f16 v91, v19, v39, v91
	v_mul_f16_sdwa v39, v19, v39 dst_sel:DWORD dst_unused:UNUSED_PAD src0_sel:WORD_1 src1_sel:DWORD
	v_fma_f16 v39, v19, v64, -v39
	v_mul_f16_sdwa v19, v20, v67 dst_sel:DWORD dst_unused:UNUSED_PAD src0_sel:WORD_1 src1_sel:DWORD
	v_lshrrev_b32_e32 v78, 16, v40
	v_fma_f16 v64, v20, v57, v19
	v_mul_f16_sdwa v19, v20, v57 dst_sel:DWORD dst_unused:UNUSED_PAD src0_sel:WORD_1 src1_sel:DWORD
	v_fma_f16 v20, v20, v67, -v19
	;; [unrolled: 5-line block ×7, first 2 shown]
	v_mul_f16_sdwa v13, v16, v90 dst_sel:DWORD dst_unused:UNUSED_PAD src0_sel:WORD_1 src1_sel:DWORD
	v_fma_f16 v93, v16, v62, v13
	v_mul_f16_sdwa v13, v16, v62 dst_sel:DWORD dst_unused:UNUSED_PAD src0_sel:WORD_1 src1_sel:DWORD
	v_add_f16_e32 v14, v91, v64
	v_fma_f16 v90, v16, v90, -v13
	v_fma_f16 v15, v14, -0.5, v37
	v_sub_f16_e32 v16, v39, v20
	v_fma_f16 v14, v16, s5, v15
	v_fma_f16 v19, v16, s4, v15
	v_add_f16_e32 v15, v63, v39
	v_add_f16_e32 v57, v15, v20
	;; [unrolled: 1-line block ×4, first 2 shown]
	v_fma_f16 v15, v15, -0.5, v63
	v_sub_f16_e32 v16, v91, v64
	v_add_f16_e32 v13, v13, v64
	v_fma_f16 v64, v16, s4, v15
	v_fma_f16 v62, v16, s5, v15
	v_add_f16_e32 v15, v38, v67
	v_add_f16_e32 v20, v15, v78
	;; [unrolled: 1-line block ×3, first 2 shown]
	v_lshrrev_b32_e32 v68, 16, v38
	v_fma_f16 v16, v15, -0.5, v38
	v_sub_f16_e32 v17, v40, v58
	v_fma_f16 v15, v17, s5, v16
	v_fma_f16 v16, v17, s4, v16
	v_add_f16_e32 v17, v68, v40
	v_add_f16_e32 v63, v17, v58
	;; [unrolled: 1-line block ×3, first 2 shown]
	v_fma_f16 v17, v17, -0.5, v68
	v_sub_f16_e32 v18, v67, v78
	v_fma_f16 v60, v18, s4, v17
	v_fma_f16 v58, v18, s5, v17
	v_add_f16_e32 v18, v79, v92
	v_lshrrev_b32_e32 v82, 16, v65
	v_lshrrev_b32_e32 v88, 16, v66
	v_fma_f16 v37, v18, -0.5, v65
	v_sub_f16_e32 v38, v83, v61
	v_add_f16_e32 v67, v89, v90
	v_fma_f16 v18, v38, s5, v37
	v_fma_f16 v37, v38, s4, v37
	v_add_f16_e32 v38, v82, v83
	v_fma_f16 v68, v67, -0.5, v88
	v_sub_f16_e32 v78, v84, v93
	v_add_f16_e32 v17, v65, v79
	v_add_f16_e32 v59, v38, v61
	v_add_f16_e32 v38, v83, v61
	v_sub_f16_e32 v39, v79, v92
	v_fma_f16 v67, v78, s4, v68
	v_fma_f16 v68, v78, s5, v68
	v_pack_b32_f16 v78, v13, v57
	v_pack_b32_f16 v79, v14, v64
	v_fma_f16 v38, v38, -0.5, v82
	s_barrier
	ds_write2_b32 v69, v78, v79 offset1:4
	v_pack_b32_f16 v78, v19, v62
	v_fma_f16 v61, v39, s4, v38
	v_fma_f16 v65, v39, s5, v38
	v_add_f16_e32 v39, v84, v93
	ds_write_b32 v69, v78 offset:32
	v_pack_b32_f16 v69, v20, v63
	v_pack_b32_f16 v78, v15, v60
	v_add_f16_e32 v17, v17, v92
	v_add_f16_e32 v38, v66, v84
	v_fma_f16 v40, v39, -0.5, v66
	v_sub_f16_e32 v66, v89, v90
	ds_write2_b32 v70, v69, v78 offset1:4
	v_pack_b32_f16 v69, v16, v58
	v_fma_f16 v39, v66, s5, v40
	v_fma_f16 v40, v66, s4, v40
	v_add_f16_e32 v66, v88, v89
	ds_write_b32 v70, v69 offset:32
	v_pack_b32_f16 v69, v17, v59
	v_pack_b32_f16 v70, v18, v61
	v_add_f16_e32 v38, v38, v93
	v_add_f16_e32 v66, v66, v90
	ds_write2_b32 v71, v69, v70 offset1:4
	v_pack_b32_f16 v69, v37, v65
	ds_write_b32 v71, v69 offset:32
	v_pack_b32_f16 v69, v38, v66
	v_pack_b32_f16 v70, v39, v67
	ds_write2_b32 v72, v69, v70 offset1:4
	v_pack_b32_f16 v69, v40, v68
	ds_write_b32 v72, v69 offset:32
	s_waitcnt lgkmcnt(0)
	s_barrier
	s_and_saveexec_b64 s[0:1], vcc
	s_cbranch_execz .LBB0_7
; %bb.6:
	ds_read2_b32 v[13:14], v54 offset1:108
	ds_read2_b32 v[19:20], v81 offset0:88 offset1:196
	ds_read2_b32 v[15:16], v80 offset0:48 offset1:156
	;; [unrolled: 1-line block ×5, first 2 shown]
	ds_read_b32 v76, v54 offset:5184
	s_waitcnt lgkmcnt(6)
	v_lshrrev_b32_e32 v57, 16, v13
	v_lshrrev_b32_e32 v64, 16, v14
	s_waitcnt lgkmcnt(5)
	v_lshrrev_b32_e32 v62, 16, v19
	v_lshrrev_b32_e32 v63, 16, v20
	;; [unrolled: 3-line block ×6, first 2 shown]
	s_waitcnt lgkmcnt(0)
	v_lshrrev_b32_e32 v77, 16, v76
.LBB0_7:
	s_or_b64 exec, exec, s[0:1]
	s_barrier
	s_and_saveexec_b64 s[0:1], vcc
	s_cbranch_execz .LBB0_9
; %bb.8:
	v_mul_f16_sdwa v70, v11, v77 dst_sel:DWORD dst_unused:UNUSED_PAD src0_sel:WORD_1 src1_sel:DWORD
	v_mul_f16_sdwa v69, v4, v64 dst_sel:DWORD dst_unused:UNUSED_PAD src0_sel:WORD_1 src1_sel:DWORD
	v_fma_f16 v70, v11, v76, v70
	v_mul_f16_sdwa v76, v11, v76 dst_sel:DWORD dst_unused:UNUSED_PAD src0_sel:WORD_1 src1_sel:DWORD
	v_fma_f16 v69, v4, v14, v69
	v_fma_f16 v11, v11, v77, -v76
	v_mul_f16_sdwa v14, v4, v14 dst_sel:DWORD dst_unused:UNUSED_PAD src0_sel:WORD_1 src1_sel:DWORD
	v_mul_f16_sdwa v76, v5, v62 dst_sel:DWORD dst_unused:UNUSED_PAD src0_sel:WORD_1 src1_sel:DWORD
	;; [unrolled: 1-line block ×3, first 2 shown]
	v_sub_f16_e32 v71, v69, v70
	v_fma_f16 v4, v4, v64, -v14
	v_fma_f16 v76, v5, v19, v76
	v_fma_f16 v77, v10, v40, v77
	v_mul_f16_sdwa v40, v10, v40 dst_sel:DWORD dst_unused:UNUSED_PAD src0_sel:WORD_1 src1_sel:DWORD
	v_mul_f16_sdwa v19, v5, v19 dst_sel:DWORD dst_unused:UNUSED_PAD src0_sel:WORD_1 src1_sel:DWORD
	v_mul_f16_e32 v72, 0xba95, v71
	v_add_f16_e32 v14, v11, v4
	s_movk_i32 s4, 0x388b
	v_sub_f16_e32 v78, v76, v77
	v_fma_f16 v10, v10, v68, -v40
	v_fma_f16 v5, v5, v62, -v19
	v_fma_f16 v64, v14, s4, v72
	v_mul_f16_e32 v79, 0xbb7b, v78
	v_add_f16_e32 v19, v10, v5
	s_mov_b32 s6, 0xb5ac
	v_add_f16_e32 v64, v57, v64
	v_fma_f16 v40, v19, s6, v79
	v_add_f16_e32 v40, v40, v64
	v_mul_f16_sdwa v62, v6, v63 dst_sel:DWORD dst_unused:UNUSED_PAD src0_sel:WORD_1 src1_sel:DWORD
	v_mul_f16_sdwa v64, v9, v67 dst_sel:DWORD dst_unused:UNUSED_PAD src0_sel:WORD_1 src1_sel:DWORD
	v_fma_f16 v62, v6, v20, v62
	v_fma_f16 v64, v9, v39, v64
	v_mul_f16_sdwa v39, v9, v39 dst_sel:DWORD dst_unused:UNUSED_PAD src0_sel:WORD_1 src1_sel:DWORD
	v_mul_f16_sdwa v20, v6, v20 dst_sel:DWORD dst_unused:UNUSED_PAD src0_sel:WORD_1 src1_sel:DWORD
	v_sub_f16_e32 v68, v62, v64
	v_fma_f16 v9, v9, v67, -v39
	v_fma_f16 v6, v6, v63, -v20
	v_mul_f16_e32 v80, 0xb3a8, v68
	v_add_f16_e32 v20, v9, v6
	s_mov_b32 s12, 0xbbc4
	v_fma_f16 v39, v20, s12, v80
	v_add_f16_e32 v39, v39, v40
	v_mul_f16_sdwa v40, v7, v60 dst_sel:DWORD dst_unused:UNUSED_PAD src0_sel:WORD_1 src1_sel:DWORD
	v_mul_f16_sdwa v63, v8, v66 dst_sel:DWORD dst_unused:UNUSED_PAD src0_sel:WORD_1 src1_sel:DWORD
	v_fma_f16 v40, v7, v15, v40
	v_fma_f16 v63, v8, v38, v63
	v_mul_f16_sdwa v38, v8, v38 dst_sel:DWORD dst_unused:UNUSED_PAD src0_sel:WORD_1 src1_sel:DWORD
	v_mul_f16_sdwa v15, v7, v15 dst_sel:DWORD dst_unused:UNUSED_PAD src0_sel:WORD_1 src1_sel:DWORD
	v_sub_f16_e32 v67, v40, v63
	v_fma_f16 v8, v8, v66, -v38
	v_fma_f16 v7, v7, v60, -v15
	v_mul_f16_e32 v81, 0x394e, v67
	v_add_f16_e32 v15, v8, v7
	s_mov_b32 s14, 0xb9fd
	v_fma_f16 v38, v15, s14, v81
	v_add_f16_e32 v38, v38, v39
	v_mul_f16_sdwa v39, v0, v58 dst_sel:DWORD dst_unused:UNUSED_PAD src0_sel:WORD_1 src1_sel:DWORD
	v_mul_f16_sdwa v60, v3, v65 dst_sel:DWORD dst_unused:UNUSED_PAD src0_sel:WORD_1 src1_sel:DWORD
	v_fma_f16 v39, v0, v16, v39
	v_fma_f16 v60, v3, v37, v60
	v_mul_f16_sdwa v37, v3, v37 dst_sel:DWORD dst_unused:UNUSED_PAD src0_sel:WORD_1 src1_sel:DWORD
	v_mul_f16_sdwa v16, v0, v16 dst_sel:DWORD dst_unused:UNUSED_PAD src0_sel:WORD_1 src1_sel:DWORD
	v_sub_f16_e32 v66, v39, v60
	v_fma_f16 v3, v3, v65, -v37
	v_fma_f16 v0, v0, v58, -v16
	v_mul_f16_e32 v82, 0x3bf1, v66
	v_add_f16_e32 v16, v3, v0
	s_movk_i32 s15, 0x2fb7
	v_fma_f16 v37, v16, s15, v82
	v_add_f16_e32 v37, v37, v38
	v_mul_f16_sdwa v38, v1, v59 dst_sel:DWORD dst_unused:UNUSED_PAD src0_sel:WORD_1 src1_sel:DWORD
	v_mul_f16_sdwa v58, v2, v61 dst_sel:DWORD dst_unused:UNUSED_PAD src0_sel:WORD_1 src1_sel:DWORD
	v_fma_f16 v38, v1, v17, v38
	v_fma_f16 v58, v2, v18, v58
	v_mul_f16_sdwa v18, v2, v18 dst_sel:DWORD dst_unused:UNUSED_PAD src0_sel:WORD_1 src1_sel:DWORD
	v_mul_f16_sdwa v17, v1, v17 dst_sel:DWORD dst_unused:UNUSED_PAD src0_sel:WORD_1 src1_sel:DWORD
	v_sub_f16_e32 v65, v38, v58
	v_fma_f16 v2, v2, v61, -v18
	v_fma_f16 v1, v1, v59, -v17
	v_mul_f16_e32 v83, 0x3770, v65
	v_add_f16_e32 v17, v2, v1
	s_movk_i32 s16, 0x3b15
	v_fma_f16 v18, v17, s16, v83
	v_sub_f16_e32 v59, v4, v11
	v_add_f16_e32 v18, v18, v37
	v_add_f16_e32 v37, v70, v69
	v_mul_f16_e32 v61, 0xba95, v59
	v_sub_f16_e32 v86, v5, v10
	v_fma_f16 v84, v37, s4, -v61
	v_add_f16_e32 v85, v77, v76
	v_mul_f16_e32 v87, 0xbb7b, v86
	v_add_f16_e32 v84, v13, v84
	v_fma_f16 v88, v85, s6, -v87
	v_sub_f16_e32 v89, v6, v9
	v_add_f16_e32 v84, v88, v84
	v_add_f16_e32 v88, v64, v62
	v_mul_f16_e32 v90, 0xb3a8, v89
	v_fma_f16 v91, v88, s12, -v90
	v_sub_f16_e32 v92, v7, v8
	v_add_f16_e32 v84, v91, v84
	v_add_f16_e32 v91, v63, v40
	v_mul_f16_e32 v93, 0x394e, v92
	;; [unrolled: 5-line block ×4, first 2 shown]
	v_fma_f16 v100, v97, s16, -v99
	v_add_f16_e32 v84, v100, v84
	v_mul_f16_e32 v100, 0xbbf1, v71
	v_fma_f16 v101, v14, s15, v100
	v_mul_f16_e32 v102, 0xb3a8, v78
	v_add_f16_e32 v101, v57, v101
	v_fma_f16 v103, v19, s12, v102
	v_add_f16_e32 v101, v103, v101
	v_mul_f16_e32 v103, 0x3b7b, v68
	v_fma_f16 v104, v20, s6, v103
	v_add_f16_e32 v101, v104, v101
	v_mul_f16_e32 v104, 0x3770, v67
	;; [unrolled: 3-line block ×5, first 2 shown]
	v_fma_f16 v108, v37, s15, -v107
	v_mul_f16_e32 v109, 0xb3a8, v86
	v_add_f16_e32 v108, v13, v108
	v_fma_f16 v110, v85, s12, -v109
	v_add_f16_e32 v108, v110, v108
	v_mul_f16_e32 v110, 0x3b7b, v89
	v_fma_f16 v111, v88, s6, -v110
	v_add_f16_e32 v108, v111, v108
	v_mul_f16_e32 v111, 0x3770, v92
	;; [unrolled: 3-line block ×5, first 2 shown]
	v_fma_f16 v115, v14, s6, v114
	v_mul_f16_e32 v116, 0x394e, v78
	v_add_f16_e32 v115, v57, v115
	v_fma_f16 v117, v19, s14, v116
	v_add_f16_e32 v115, v117, v115
	v_mul_f16_e32 v117, 0x3770, v68
	v_fma_f16 v118, v20, s16, v117
	v_add_f16_e32 v115, v118, v115
	v_mul_f16_e32 v118, 0xbbf1, v67
	;; [unrolled: 3-line block ×5, first 2 shown]
	v_fma_f16 v122, v37, s6, -v121
	v_mul_f16_e32 v123, 0x394e, v86
	v_add_f16_e32 v122, v13, v122
	v_fma_f16 v124, v85, s14, -v123
	v_add_f16_e32 v122, v124, v122
	v_mul_f16_e32 v124, 0x3770, v89
	v_fma_f16 v125, v88, s16, -v124
	v_add_f16_e32 v122, v125, v122
	v_mul_f16_e32 v125, 0xbbf1, v92
	v_fma_f16 v126, v91, s15, -v125
	v_add_f16_e32 v122, v126, v122
	v_mul_f16_e32 v126, 0x33a8, v95
	v_fma_f16 v127, v94, s12, -v126
	v_add_f16_e32 v122, v127, v122
	v_mul_f16_e32 v127, 0x3a95, v98
	v_fma_f16 v128, v97, s4, -v127
	v_add_f16_e32 v122, v128, v122
	v_mul_f16_e32 v128, 0xb94e, v71
	v_fma_f16 v129, v14, s14, v128
	v_mul_f16_e32 v130, 0x3bf1, v78
	v_add_f16_e32 v129, v57, v129
	v_fma_f16 v131, v19, s15, v130
	v_add_f16_e32 v129, v131, v129
	v_mul_f16_e32 v131, 0xba95, v68
	v_fma_f16 v132, v20, s4, v131
	v_add_f16_e32 v129, v132, v129
	v_mul_f16_e32 v132, 0x33a8, v67
	v_fma_f16 v133, v15, s12, v132
	v_add_f16_e32 v129, v133, v129
	v_mul_f16_e32 v133, 0x3770, v66
	v_fma_f16 v134, v16, s16, v133
	v_add_f16_e32 v129, v134, v129
	v_mul_f16_e32 v134, 0xbb7b, v65
	v_fma_f16 v135, v17, s6, v134
	v_add_f16_e32 v129, v135, v129
	v_mul_f16_e32 v135, 0xb94e, v59
	v_fma_f16 v136, v37, s14, -v135
	v_mul_f16_e32 v137, 0x3bf1, v86
	v_add_f16_e32 v136, v13, v136
	v_fma_f16 v138, v85, s15, -v137
	v_add_f16_e32 v136, v138, v136
	v_mul_f16_e32 v138, 0xba95, v89
	v_fma_f16 v139, v88, s4, -v138
	v_add_f16_e32 v136, v139, v136
	v_mul_f16_e32 v139, 0x33a8, v92
	v_fma_f16 v72, v14, s4, -v72
	v_fma_f16 v140, v91, s12, -v139
	v_add_f16_e32 v72, v57, v72
	v_fma_f16 v79, v19, s6, -v79
	v_add_f16_e32 v136, v140, v136
	v_mul_f16_e32 v140, 0x3770, v95
	v_add_f16_e32 v72, v79, v72
	v_fma_f16 v79, v20, s12, -v80
	v_fma_f16 v141, v94, s16, -v140
	v_add_f16_e32 v72, v79, v72
	v_fma_f16 v79, v15, s14, -v81
	v_add_f16_e32 v136, v141, v136
	v_mul_f16_e32 v141, 0xbb7b, v98
	v_add_f16_e32 v72, v79, v72
	v_fma_f16 v79, v16, s15, -v82
	v_fma_f16 v142, v97, s6, -v141
	v_add_f16_e32 v72, v79, v72
	v_fma_f16 v79, v17, s16, -v83
	v_fma_f16 v61, v37, s4, v61
	v_add_f16_e32 v136, v142, v136
	v_mul_f16_e32 v142, 0xb3a8, v71
	v_add_f16_e32 v72, v79, v72
	v_add_f16_e32 v61, v13, v61
	v_fma_f16 v79, v85, s6, v87
	v_fma_f16 v143, v14, s12, v142
	v_mul_f16_e32 v144, 0x3770, v78
	v_add_f16_e32 v61, v79, v61
	v_fma_f16 v79, v88, s12, v90
	v_add_f16_e32 v143, v57, v143
	v_fma_f16 v145, v19, s16, v144
	;; [unrolled: 2-line block ×3, first 2 shown]
	v_add_f16_e32 v143, v145, v143
	v_mul_f16_e32 v145, 0xb94e, v68
	v_add_f16_e32 v61, v79, v61
	v_fma_f16 v79, v94, s15, v96
	s_movk_i32 s21, 0x3770
	v_fma_f16 v146, v20, s14, v145
	v_fma_f16 v142, v14, s12, -v142
	v_fma_f16 v128, v14, s14, -v128
	;; [unrolled: 1-line block ×4, first 2 shown]
	v_add_f16_e32 v61, v79, v61
	v_fma_f16 v79, v97, s16, v99
	v_mul_f16_e32 v14, 0x3b15, v14
	s_movk_i32 s24, 0x3a95
	v_add_f16_e32 v143, v146, v143
	v_mul_f16_e32 v146, 0x3a95, v67
	v_add_f16_e32 v142, v57, v142
	v_fma_f16 v144, v19, s16, -v144
	v_add_f16_e32 v128, v57, v128
	v_fma_f16 v130, v19, s15, -v130
	;; [unrolled: 2-line block ×4, first 2 shown]
	v_add_f16_e32 v61, v79, v61
	v_fma_f16 v79, v71, s21, v14
	v_mul_f16_e32 v19, 0x388b, v19
	v_add_f16_e32 v4, v4, v57
	s_movk_i32 s19, 0x3bf1
	v_fma_f16 v147, v15, s4, v146
	v_add_f16_e32 v142, v144, v142
	v_fma_f16 v144, v20, s14, -v145
	v_add_f16_e32 v128, v130, v128
	v_fma_f16 v130, v20, s4, -v131
	;; [unrolled: 2-line block ×4, first 2 shown]
	v_add_f16_e32 v79, v57, v79
	v_fma_f16 v80, v78, s24, v19
	v_mul_f16_e32 v20, 0x2fb7, v20
	v_add_f16_e32 v4, v5, v4
	s_movk_i32 s22, 0x3b7b
	v_add_f16_e32 v143, v147, v143
	v_mul_f16_e32 v147, 0xbb7b, v66
	v_add_f16_e32 v142, v144, v142
	v_fma_f16 v144, v15, s4, -v146
	v_add_f16_e32 v128, v130, v128
	v_fma_f16 v130, v15, s12, -v132
	v_add_f16_e32 v114, v116, v114
	v_fma_f16 v116, v15, s15, -v118
	v_add_f16_e32 v100, v102, v100
	v_fma_f16 v102, v15, s16, -v104
	v_add_f16_e32 v79, v80, v79
	v_fma_f16 v80, v68, s19, v20
	v_mul_f16_e32 v15, 0xb5ac, v15
	v_add_f16_e32 v4, v6, v4
	s_movk_i32 s17, 0x394e
	v_fma_f16 v148, v16, s6, v147
	v_add_f16_e32 v142, v144, v142
	v_fma_f16 v144, v16, s6, -v147
	v_add_f16_e32 v128, v130, v128
	v_fma_f16 v130, v16, s16, -v133
	;; [unrolled: 2-line block ×4, first 2 shown]
	v_add_f16_e32 v79, v80, v79
	v_fma_f16 v80, v67, s22, v15
	v_mul_f16_e32 v16, 0xb9fd, v16
	v_add_f16_e32 v4, v7, v4
	v_add_f16_e32 v143, v148, v143
	v_mul_f16_e32 v148, 0x3bf1, v65
	v_add_f16_e32 v79, v80, v79
	v_fma_f16 v80, v66, s17, v16
	s_mov_b32 s17, 0xb770
	v_add_f16_e32 v0, v0, v4
	s_mov_b32 s5, 0xba95
	s_movk_i32 s23, 0x33a8
	v_fma_f16 v149, v17, s15, v148
	v_add_f16_e32 v142, v144, v142
	v_fma_f16 v144, v17, s15, -v148
	v_add_f16_e32 v128, v130, v128
	v_fma_f16 v130, v17, s6, -v134
	;; [unrolled: 2-line block ×4, first 2 shown]
	v_mul_f16_e32 v17, 0xbbc4, v17
	v_add_f16_e32 v0, v1, v0
	v_fma_f16 v1, v71, s17, v14
	s_mov_b32 s18, 0xbbf1
	v_add_f16_e32 v143, v149, v143
	v_mul_f16_e32 v149, 0xb3a8, v59
	v_add_f16_e32 v79, v80, v79
	v_fma_f16 v80, v65, s23, v17
	v_mul_f16_e32 v59, 0xb770, v59
	v_add_f16_e32 v69, v13, v69
	v_add_f16_e32 v0, v2, v0
	;; [unrolled: 1-line block ×3, first 2 shown]
	v_fma_f16 v2, v78, s5, v19
	s_mov_b32 s7, 0xbb7b
	v_add_f16_e32 v79, v80, v79
	v_fma_f16 v80, v37, s16, v59
	v_mul_f16_e32 v81, 0xba95, v86
	v_add_f16_e32 v69, v76, v69
	v_add_f16_e32 v1, v2, v1
	v_fma_f16 v2, v68, s18, v20
	s_mov_b32 s20, 0xb94e
	v_add_f16_e32 v80, v13, v80
	v_fma_f16 v82, v85, s4, v81
	v_add_f16_e32 v62, v62, v69
	v_add_f16_e32 v1, v2, v1
	v_fma_f16 v2, v67, s7, v15
	s_mov_b32 s13, 0xb3a8
	v_add_f16_e32 v80, v82, v80
	v_mul_f16_e32 v82, 0xbbf1, v89
	v_add_f16_e32 v40, v40, v62
	v_add_f16_e32 v1, v2, v1
	v_fma_f16 v2, v66, s20, v16
	v_fma_f16 v150, v37, s12, -v149
	v_mul_f16_e32 v151, 0x3770, v86
	v_fma_f16 v83, v88, s15, v82
	v_add_f16_e32 v39, v39, v40
	v_add_f16_e32 v1, v2, v1
	v_fma_f16 v2, v65, s13, v17
	v_add_f16_e32 v150, v13, v150
	v_fma_f16 v152, v85, s16, -v151
	v_add_f16_e32 v80, v83, v80
	v_mul_f16_e32 v83, 0xbb7b, v92
	v_add_f16_e32 v38, v38, v39
	v_add_f16_e32 v1, v2, v1
	v_fma_f16 v2, v37, s16, -v59
	v_add_f16_e32 v150, v152, v150
	v_mul_f16_e32 v152, 0xb94e, v89
	v_add_f16_e32 v100, v102, v100
	v_fma_f16 v102, v37, s15, v107
	v_fma_f16 v86, v91, s6, v83
	v_add_f16_e32 v38, v58, v38
	v_add_f16_e32 v0, v3, v0
	;; [unrolled: 1-line block ×3, first 2 shown]
	v_fma_f16 v3, v85, s4, -v81
	v_fma_f16 v153, v88, s14, -v152
	v_add_f16_e32 v128, v130, v128
	v_fma_f16 v130, v37, s14, v135
	v_add_f16_e32 v114, v116, v114
	v_fma_f16 v116, v37, s6, v121
	;; [unrolled: 2-line block ×3, first 2 shown]
	v_add_f16_e32 v80, v86, v80
	v_mul_f16_e32 v86, 0xb94e, v95
	v_add_f16_e32 v38, v60, v38
	v_add_f16_e32 v2, v3, v2
	v_fma_f16 v3, v88, s15, -v82
	v_add_f16_e32 v150, v153, v150
	v_mul_f16_e32 v153, 0x3a95, v92
	v_add_f16_e32 v142, v144, v142
	v_fma_f16 v144, v37, s12, v149
	v_add_f16_e32 v130, v13, v130
	v_fma_f16 v131, v85, s15, v137
	;; [unrolled: 2-line block ×4, first 2 shown]
	v_fma_f16 v87, v94, s14, v86
	v_add_f16_e32 v38, v63, v38
	v_add_f16_e32 v0, v8, v0
	;; [unrolled: 1-line block ×3, first 2 shown]
	v_fma_f16 v3, v91, s6, -v83
	v_fma_f16 v154, v91, s4, -v153
	v_add_f16_e32 v144, v13, v144
	v_fma_f16 v145, v85, s16, v151
	v_add_f16_e32 v130, v131, v130
	v_fma_f16 v131, v88, s4, v138
	v_add_f16_e32 v116, v117, v116
	v_fma_f16 v117, v88, s16, v124
	v_add_f16_e32 v102, v103, v102
	v_fma_f16 v103, v91, s16, v111
	v_add_f16_e32 v80, v87, v80
	v_mul_f16_e32 v87, 0xb3a8, v98
	v_add_f16_e32 v38, v64, v38
	v_add_f16_e32 v0, v9, v0
	;; [unrolled: 1-line block ×3, first 2 shown]
	v_fma_f16 v3, v94, s14, -v86
	v_add_f16_e32 v150, v154, v150
	v_mul_f16_e32 v154, 0xbb7b, v95
	v_add_f16_e32 v144, v145, v144
	v_fma_f16 v145, v88, s14, v152
	v_add_f16_e32 v130, v131, v130
	v_fma_f16 v131, v91, s12, v139
	;; [unrolled: 2-line block ×4, first 2 shown]
	v_fma_f16 v89, v97, s12, v87
	v_add_f16_e32 v38, v77, v38
	v_add_f16_e32 v0, v10, v0
	;; [unrolled: 1-line block ×3, first 2 shown]
	v_fma_f16 v3, v97, s12, -v87
	v_fma_f16 v155, v94, s6, -v154
	v_add_f16_e32 v144, v145, v144
	v_fma_f16 v145, v91, s4, v153
	v_add_f16_e32 v130, v131, v130
	v_fma_f16 v131, v94, s16, v140
	;; [unrolled: 2-line block ×4, first 2 shown]
	v_add_f16_e32 v80, v89, v80
	v_add_f16_e32 v38, v70, v38
	;; [unrolled: 1-line block ×4, first 2 shown]
	v_mul_u32_u24_e32 v3, 0x9c, v55
	v_add_f16_e32 v150, v155, v150
	v_mul_f16_e32 v155, 0x3bf1, v98
	v_add_f16_e32 v144, v145, v144
	v_fma_f16 v145, v94, s6, v154
	v_add_f16_e32 v130, v131, v130
	v_fma_f16 v131, v97, s6, v141
	;; [unrolled: 2-line block ×3, first 2 shown]
	v_add_f16_e32 v102, v103, v102
	v_add_lshl_u32 v3, v3, v56, 2
	v_pack_b32_f16 v0, v38, v0
	v_pack_b32_f16 v4, v80, v79
	v_fma_f16 v156, v97, s15, -v155
	v_add_f16_e32 v144, v145, v144
	v_fma_f16 v145, v97, s15, v155
	v_add_f16_e32 v130, v131, v130
	v_add_f16_e32 v116, v117, v116
	ds_write2_b32 v3, v0, v4 offset1:12
	v_pack_b32_f16 v0, v61, v72
	v_pack_b32_f16 v4, v102, v100
	v_add_f16_e32 v150, v156, v150
	v_add_f16_e32 v144, v145, v144
	ds_write2_b32 v3, v0, v4 offset0:24 offset1:36
	v_pack_b32_f16 v0, v116, v114
	v_pack_b32_f16 v4, v130, v128
	ds_write2_b32 v3, v0, v4 offset0:48 offset1:60
	v_pack_b32_f16 v0, v144, v142
	v_pack_b32_f16 v4, v150, v143
	;; [unrolled: 3-line block ×4, first 2 shown]
	ds_write2_b32 v3, v0, v4 offset0:120 offset1:132
	v_pack_b32_f16 v0, v2, v1
	ds_write_b32 v3, v0 offset:576
.LBB0_9:
	s_or_b64 exec, exec, s[0:1]
	v_add_u32_e32 v2, 0x600, v54
	s_waitcnt lgkmcnt(0)
	s_barrier
	ds_read2_b32 v[7:8], v2 offset0:84 offset1:201
	v_add_u32_e32 v3, 0xe00, v54
	ds_read2_b32 v[9:10], v3 offset0:40 offset1:157
	v_add_u32_e32 v37, 0xa00, v54
	ds_read2_b32 v[15:16], v37 offset0:62 offset1:179
	s_waitcnt lgkmcnt(2)
	v_lshrrev_b32_e32 v11, 16, v7
	v_add_u32_e32 v0, 0x1200, v54
	ds_read2_b32 v[17:18], v0 offset0:18 offset1:135
	v_mul_f16_sdwa v60, v21, v11 dst_sel:DWORD dst_unused:UNUSED_PAD src0_sel:WORD_1 src1_sel:DWORD
	s_waitcnt lgkmcnt(2)
	v_lshrrev_b32_e32 v19, 16, v9
	v_fma_f16 v60, v21, v7, v60
	v_mul_f16_sdwa v7, v21, v7 dst_sel:DWORD dst_unused:UNUSED_PAD src0_sel:WORD_1 src1_sel:DWORD
	v_fma_f16 v7, v21, v11, -v7
	v_mul_f16_sdwa v11, v22, v19 dst_sel:DWORD dst_unused:UNUSED_PAD src0_sel:WORD_1 src1_sel:DWORD
	s_waitcnt lgkmcnt(1)
	v_lshrrev_b32_e32 v55, 16, v15
	v_fma_f16 v11, v22, v9, v11
	v_mul_f16_sdwa v9, v22, v9 dst_sel:DWORD dst_unused:UNUSED_PAD src0_sel:WORD_1 src1_sel:DWORD
	v_fma_f16 v9, v22, v19, -v9
	v_mul_f16_sdwa v22, v23, v55 dst_sel:DWORD dst_unused:UNUSED_PAD src0_sel:WORD_1 src1_sel:DWORD
	s_waitcnt lgkmcnt(0)
	v_lshrrev_b32_e32 v56, 16, v17
	v_fma_f16 v22, v23, v15, v22
	v_mul_f16_sdwa v15, v23, v15 dst_sel:DWORD dst_unused:UNUSED_PAD src0_sel:WORD_1 src1_sel:DWORD
	ds_read2_b32 v[5:6], v54 offset1:117
	v_fma_f16 v15, v23, v55, -v15
	v_mul_f16_sdwa v23, v24, v56 dst_sel:DWORD dst_unused:UNUSED_PAD src0_sel:WORD_1 src1_sel:DWORD
	v_lshrrev_b32_e32 v38, 16, v8
	v_lshrrev_b32_e32 v58, 16, v16
	v_fma_f16 v23, v24, v17, v23
	v_mul_f16_sdwa v17, v24, v17 dst_sel:DWORD dst_unused:UNUSED_PAD src0_sel:WORD_1 src1_sel:DWORD
	v_lshrrev_b32_e32 v39, 16, v10
	v_mul_f16_sdwa v19, v25, v38 dst_sel:DWORD dst_unused:UNUSED_PAD src0_sel:WORD_1 src1_sel:DWORD
	v_fma_f16 v17, v24, v56, -v17
	v_mul_f16_sdwa v24, v27, v58 dst_sel:DWORD dst_unused:UNUSED_PAD src0_sel:WORD_1 src1_sel:DWORD
	v_lshrrev_b32_e32 v59, 16, v18
	v_fma_f16 v19, v25, v8, v19
	v_mul_f16_sdwa v8, v25, v8 dst_sel:DWORD dst_unused:UNUSED_PAD src0_sel:WORD_1 src1_sel:DWORD
	v_mul_f16_sdwa v21, v26, v39 dst_sel:DWORD dst_unused:UNUSED_PAD src0_sel:WORD_1 src1_sel:DWORD
	v_fma_f16 v24, v27, v16, v24
	v_mul_f16_sdwa v16, v27, v16 dst_sel:DWORD dst_unused:UNUSED_PAD src0_sel:WORD_1 src1_sel:DWORD
	v_fma_f16 v8, v25, v38, -v8
	v_fma_f16 v21, v26, v10, v21
	v_mul_f16_sdwa v10, v26, v10 dst_sel:DWORD dst_unused:UNUSED_PAD src0_sel:WORD_1 src1_sel:DWORD
	v_fma_f16 v16, v27, v58, -v16
	v_mul_f16_sdwa v25, v28, v59 dst_sel:DWORD dst_unused:UNUSED_PAD src0_sel:WORD_1 src1_sel:DWORD
	v_add_f16_e32 v27, v60, v11
	s_waitcnt lgkmcnt(0)
	v_lshrrev_b32_e32 v1, 16, v5
	v_add_u32_e32 v4, 0x200, v54
	v_fma_f16 v10, v26, v39, -v10
	v_fma_f16 v25, v28, v18, v25
	v_mul_f16_sdwa v18, v28, v18 dst_sel:DWORD dst_unused:UNUSED_PAD src0_sel:WORD_1 src1_sel:DWORD
	v_add_f16_e32 v26, v5, v60
	v_fma_f16 v5, v27, -0.5, v5
	v_sub_f16_e32 v27, v7, v9
	s_mov_b32 s0, 0xbaee
	s_movk_i32 s1, 0x3aee
	ds_read2_b32 v[13:14], v4 offset0:106 offset1:223
	v_fma_f16 v18, v28, v59, -v18
	v_fma_f16 v28, v27, s0, v5
	v_fma_f16 v5, v27, s1, v5
	v_add_f16_e32 v27, v1, v7
	v_add_f16_e32 v7, v7, v9
	;; [unrolled: 1-line block ×3, first 2 shown]
	v_fma_f16 v1, v7, -0.5, v1
	v_sub_f16_e32 v7, v60, v11
	v_add_f16_e32 v11, v19, v21
	v_lshrrev_b32_e32 v20, 16, v6
	v_add_f16_e32 v27, v27, v9
	v_fma_f16 v9, v7, s1, v1
	v_fma_f16 v1, v7, s0, v1
	v_add_f16_e32 v7, v6, v19
	v_fma_f16 v6, v11, -0.5, v6
	v_sub_f16_e32 v11, v8, v10
	v_fma_f16 v38, v11, s0, v6
	v_fma_f16 v6, v11, s1, v6
	v_add_f16_e32 v11, v20, v8
	v_add_f16_e32 v8, v8, v10
	;; [unrolled: 1-line block ×3, first 2 shown]
	v_fma_f16 v8, v8, -0.5, v20
	v_sub_f16_e32 v10, v19, v21
	v_add_f16_e32 v20, v22, v23
	s_waitcnt lgkmcnt(0)
	v_lshrrev_b32_e32 v40, 16, v13
	v_fma_f16 v19, v10, s1, v8
	v_fma_f16 v8, v10, s0, v8
	v_add_f16_e32 v10, v13, v22
	v_fma_f16 v13, v20, -0.5, v13
	v_sub_f16_e32 v20, v15, v17
	v_add_f16_e32 v7, v7, v21
	v_fma_f16 v21, v20, s0, v13
	v_fma_f16 v13, v20, s1, v13
	v_add_f16_e32 v20, v40, v15
	v_add_f16_e32 v15, v15, v17
	;; [unrolled: 1-line block ×4, first 2 shown]
	v_fma_f16 v15, v15, -0.5, v40
	v_sub_f16_e32 v17, v22, v23
	v_add_f16_e32 v23, v24, v25
	v_lshrrev_b32_e32 v57, 16, v14
	v_fma_f16 v22, v17, s1, v15
	v_fma_f16 v15, v17, s0, v15
	v_add_f16_e32 v17, v14, v24
	v_fma_f16 v14, v23, -0.5, v14
	v_sub_f16_e32 v23, v16, v18
	v_fma_f16 v39, v23, s0, v14
	v_fma_f16 v14, v23, s1, v14
	v_add_f16_e32 v23, v57, v16
	v_add_f16_e32 v16, v16, v18
	v_add_f16_e32 v23, v23, v18
	v_fma_f16 v16, v16, -0.5, v57
	v_sub_f16_e32 v18, v24, v25
	v_pack_b32_f16 v1, v5, v1
	v_fma_f16 v24, v18, s1, v16
	v_fma_f16 v16, v18, s0, v16
	s_barrier
	v_pack_b32_f16 v18, v26, v27
	v_pack_b32_f16 v9, v28, v9
	ds_write_b32 v54, v1 offset:1248
	v_pack_b32_f16 v1, v7, v11
	v_pack_b32_f16 v5, v38, v19
	ds_write2_b32 v54, v18, v9 offset1:156
	ds_write2_b32 v73, v1, v5 offset1:156
	v_pack_b32_f16 v1, v6, v8
	ds_write_b32 v73, v1 offset:1248
	v_pack_b32_f16 v1, v10, v20
	v_pack_b32_f16 v5, v21, v22
	v_add_f16_e32 v17, v17, v25
	ds_write2_b32 v74, v1, v5 offset1:156
	v_pack_b32_f16 v1, v13, v15
	ds_write_b32 v74, v1 offset:1248
	v_pack_b32_f16 v1, v17, v23
	v_pack_b32_f16 v5, v39, v24
	v_add_u32_e32 v6, 0xe00, v75
	ds_write2_b32 v6, v1, v5 offset0:40 offset1:196
	v_pack_b32_f16 v1, v14, v16
	ds_write_b32 v75, v1 offset:4992
	s_waitcnt lgkmcnt(0)
	s_barrier
	ds_read2_b32 v[5:6], v54 offset1:117
	ds_read2_b32 v[7:8], v2 offset0:84 offset1:201
	ds_read2_b32 v[9:10], v3 offset0:40 offset1:157
	;; [unrolled: 1-line block ×5, first 2 shown]
	s_mov_b32 s4, 0xc201756d
	s_waitcnt lgkmcnt(5)
	v_lshrrev_b32_e32 v1, 16, v5
	s_waitcnt lgkmcnt(4)
	v_lshrrev_b32_e32 v11, 16, v7
	v_mul_f16_sdwa v38, v29, v11 dst_sel:DWORD dst_unused:UNUSED_PAD src0_sel:WORD_1 src1_sel:DWORD
	s_waitcnt lgkmcnt(3)
	v_lshrrev_b32_e32 v19, 16, v9
	v_fma_f16 v38, v29, v7, v38
	v_mul_f16_sdwa v7, v29, v7 dst_sel:DWORD dst_unused:UNUSED_PAD src0_sel:WORD_1 src1_sel:DWORD
	v_fma_f16 v7, v29, v11, -v7
	v_mul_f16_sdwa v11, v30, v19 dst_sel:DWORD dst_unused:UNUSED_PAD src0_sel:WORD_1 src1_sel:DWORD
	v_lshrrev_b32_e32 v21, 16, v8
	v_fma_f16 v11, v30, v9, v11
	v_mul_f16_sdwa v9, v30, v9 dst_sel:DWORD dst_unused:UNUSED_PAD src0_sel:WORD_1 src1_sel:DWORD
	v_fma_f16 v9, v30, v19, -v9
	v_mul_f16_sdwa v19, v31, v21 dst_sel:DWORD dst_unused:UNUSED_PAD src0_sel:WORD_1 src1_sel:DWORD
	;; [unrolled: 5-line block ×3, first 2 shown]
	s_waitcnt lgkmcnt(1)
	v_lshrrev_b32_e32 v24, 16, v15
	v_fma_f16 v21, v32, v10, v21
	v_mul_f16_sdwa v10, v32, v10 dst_sel:DWORD dst_unused:UNUSED_PAD src0_sel:WORD_1 src1_sel:DWORD
	v_fma_f16 v10, v32, v22, -v10
	v_mul_f16_sdwa v22, v33, v24 dst_sel:DWORD dst_unused:UNUSED_PAD src0_sel:WORD_1 src1_sel:DWORD
	s_waitcnt lgkmcnt(0)
	v_lshrrev_b32_e32 v25, 16, v17
	v_fma_f16 v22, v33, v15, v22
	v_mul_f16_sdwa v15, v33, v15 dst_sel:DWORD dst_unused:UNUSED_PAD src0_sel:WORD_1 src1_sel:DWORD
	v_fma_f16 v15, v33, v24, -v15
	v_mul_f16_sdwa v24, v34, v25 dst_sel:DWORD dst_unused:UNUSED_PAD src0_sel:WORD_1 src1_sel:DWORD
	v_lshrrev_b32_e32 v27, 16, v16
	v_fma_f16 v24, v34, v17, v24
	v_mul_f16_sdwa v17, v34, v17 dst_sel:DWORD dst_unused:UNUSED_PAD src0_sel:WORD_1 src1_sel:DWORD
	v_fma_f16 v17, v34, v25, -v17
	v_mul_f16_sdwa v25, v35, v27 dst_sel:DWORD dst_unused:UNUSED_PAD src0_sel:WORD_1 src1_sel:DWORD
	;; [unrolled: 5-line block ×3, first 2 shown]
	v_fma_f16 v27, v36, v18, v27
	v_mul_f16_sdwa v18, v36, v18 dst_sel:DWORD dst_unused:UNUSED_PAD src0_sel:WORD_1 src1_sel:DWORD
	v_add_f16_e32 v29, v38, v11
	v_fma_f16 v18, v36, v28, -v18
	v_add_f16_e32 v28, v5, v38
	v_fma_f16 v5, v29, -0.5, v5
	v_sub_f16_e32 v29, v7, v9
	v_fma_f16 v30, v29, s0, v5
	v_fma_f16 v5, v29, s1, v5
	v_add_f16_e32 v29, v1, v7
	v_add_f16_e32 v7, v7, v9
	;; [unrolled: 1-line block ×3, first 2 shown]
	v_fma_f16 v1, v7, -0.5, v1
	v_sub_f16_e32 v7, v38, v11
	v_add_f16_e32 v11, v19, v21
	v_lshrrev_b32_e32 v20, 16, v6
	v_add_f16_e32 v29, v29, v9
	v_fma_f16 v9, v7, s1, v1
	v_fma_f16 v1, v7, s0, v1
	v_add_f16_e32 v7, v6, v19
	v_fma_f16 v6, v11, -0.5, v6
	v_sub_f16_e32 v11, v8, v10
	v_fma_f16 v31, v11, s0, v6
	v_fma_f16 v6, v11, s1, v6
	v_add_f16_e32 v11, v20, v8
	v_add_f16_e32 v8, v8, v10
	;; [unrolled: 1-line block ×3, first 2 shown]
	v_fma_f16 v8, v8, -0.5, v20
	v_sub_f16_e32 v10, v19, v21
	v_add_f16_e32 v20, v22, v24
	v_lshrrev_b32_e32 v23, 16, v13
	v_fma_f16 v19, v10, s1, v8
	v_fma_f16 v8, v10, s0, v8
	v_add_f16_e32 v10, v13, v22
	v_fma_f16 v13, v20, -0.5, v13
	v_sub_f16_e32 v20, v15, v17
	v_add_f16_e32 v7, v7, v21
	v_fma_f16 v21, v20, s0, v13
	v_fma_f16 v13, v20, s1, v13
	v_add_f16_e32 v20, v23, v15
	v_add_f16_e32 v15, v15, v17
	;; [unrolled: 1-line block ×3, first 2 shown]
	v_fma_f16 v15, v15, -0.5, v23
	v_sub_f16_e32 v17, v22, v24
	v_add_f16_e32 v23, v25, v27
	v_lshrrev_b32_e32 v26, 16, v14
	v_fma_f16 v22, v17, s1, v15
	v_fma_f16 v15, v17, s0, v15
	v_add_f16_e32 v17, v14, v25
	v_fma_f16 v14, v23, -0.5, v14
	v_sub_f16_e32 v23, v16, v18
	v_add_f16_e32 v10, v10, v24
	v_fma_f16 v24, v23, s0, v14
	v_fma_f16 v14, v23, s1, v14
	v_add_f16_e32 v23, v26, v16
	v_add_f16_e32 v16, v16, v18
	;; [unrolled: 1-line block ×3, first 2 shown]
	v_fma_f16 v16, v16, -0.5, v26
	v_sub_f16_e32 v18, v25, v27
	v_pack_b32_f16 v1, v5, v1
	v_fma_f16 v25, v18, s1, v16
	v_fma_f16 v16, v18, s0, v16
	v_pack_b32_f16 v18, v28, v29
	v_pack_b32_f16 v9, v30, v9
	ds_write_b32 v54, v1 offset:3744
	v_pack_b32_f16 v1, v7, v11
	v_add_f16_e32 v17, v17, v27
	ds_write_b32 v54, v9 offset:1872
	ds_write2_b32 v54, v18, v1 offset1:117
	v_pack_b32_f16 v1, v31, v19
	v_pack_b32_f16 v5, v6, v8
	;; [unrolled: 1-line block ×3, first 2 shown]
	v_add_u32_e32 v7, 0x800, v54
	ds_write_b32 v54, v5 offset:4212
	v_pack_b32_f16 v5, v10, v20
	ds_write2_b32 v7, v1, v6 offset0:73 offset1:190
	v_pack_b32_f16 v6, v17, v23
	ds_write2_b32 v4, v5, v6 offset0:106 offset1:223
	v_pack_b32_f16 v5, v24, v25
	v_pack_b32_f16 v1, v13, v15
	ds_write_b32 v54, v5 offset:3276
	v_pack_b32_f16 v5, v14, v16
	ds_write2_b32 v0, v1, v5 offset0:18 offset1:135
	s_waitcnt lgkmcnt(0)
	s_barrier
	ds_read2_b32 v[5:6], v54 offset1:117
	s_mov_b32 s5, 0x3f4756ca
	v_mad_u64_u32 v[7:8], s[0:1], s10, v12, 0
	s_movk_i32 s6, 0x1ff
	s_waitcnt lgkmcnt(0)
	v_lshrrev_b32_e32 v13, 16, v5
	v_mul_f16_sdwa v1, v53, v13 dst_sel:DWORD dst_unused:UNUSED_PAD src0_sel:WORD_1 src1_sel:DWORD
	v_fma_f16 v1, v53, v5, v1
	v_cvt_f32_f16_e32 v1, v1
	s_movk_i32 s7, 0xffe
	v_mul_f16_sdwa v5, v53, v5 dst_sel:DWORD dst_unused:UNUSED_PAD src0_sel:WORD_1 src1_sel:DWORD
	v_fma_f16 v5, v53, v13, -v5
	v_cvt_f64_f32_e32 v[9:10], v1
	v_mov_b32_e32 v1, v8
	v_mad_u64_u32 v[11:12], s[0:1], s11, v12, v[1:2]
	v_mul_f64 v[9:10], v[9:10], s[4:5]
	v_cvt_f32_f16_e32 v5, v5
	v_mov_b32_e32 v8, v11
	s_movk_i32 s10, 0x40f
	s_mov_b32 s11, 0x8000
	v_lshlrev_b64 v[7:8], 2, v[7:8]
	v_and_or_b32 v1, v10, s6, v9
	v_cmp_ne_u32_e32 vcc, 0, v1
	v_cndmask_b32_e64 v1, 0, 1, vcc
	v_lshrrev_b32_e32 v9, 8, v10
	v_bfe_u32 v11, v10, 20, 11
	v_and_or_b32 v9, v9, s7, v1
	v_sub_u32_e32 v12, 0x3f1, v11
	v_or_b32_e32 v1, 0x1000, v9
	v_med3_i32 v12, v12, 0, 13
	v_lshrrev_b32_e32 v14, v12, v1
	v_lshlrev_b32_e32 v12, v12, v14
	v_cmp_ne_u32_e32 vcc, v12, v1
	v_cndmask_b32_e64 v1, 0, 1, vcc
	v_or_b32_e32 v1, v14, v1
	v_add_u32_e32 v14, 0xfffffc10, v11
	v_lshl_or_b32 v11, v14, 12, v9
	v_cmp_gt_i32_e32 vcc, 1, v14
	v_cndmask_b32_e32 v1, v11, v1, vcc
	v_and_b32_e32 v11, 7, v1
	v_cmp_lt_i32_e32 vcc, 5, v11
	v_cmp_eq_u32_e64 s[0:1], 3, v11
	v_cvt_f64_f32_e32 v[11:12], v5
	v_lshrrev_b32_e32 v1, 2, v1
	s_or_b64 vcc, s[0:1], vcc
	v_addc_co_u32_e32 v13, vcc, 0, v1, vcc
	v_mul_f64 v[11:12], v[11:12], s[4:5]
	v_mov_b32_e32 v1, 0x7c00
	v_cmp_gt_i32_e32 vcc, 31, v14
	v_cndmask_b32_e32 v5, v1, v13, vcc
	v_cmp_ne_u32_e32 vcc, 0, v9
	v_cndmask_b32_e64 v9, 0, 1, vcc
	v_lshl_or_b32 v9, v9, 9, v1
	v_cmp_eq_u32_e32 vcc, s10, v14
	v_cndmask_b32_e32 v5, v5, v9, vcc
	v_lshrrev_b32_e32 v9, 16, v10
	v_and_or_b32 v15, v9, s11, v5
	v_and_or_b32 v5, v12, s6, v11
	v_cmp_ne_u32_e32 vcc, 0, v5
	v_cndmask_b32_e64 v5, 0, 1, vcc
	v_lshrrev_b32_e32 v9, 8, v12
	v_bfe_u32 v10, v12, 20, 11
	v_and_or_b32 v5, v9, s7, v5
	v_sub_u32_e32 v11, 0x3f1, v10
	v_or_b32_e32 v9, 0x1000, v5
	v_med3_i32 v11, v11, 0, 13
	v_lshrrev_b32_e32 v13, v11, v9
	v_lshlrev_b32_e32 v11, v11, v13
	v_cmp_ne_u32_e32 vcc, v11, v9
	v_cndmask_b32_e64 v9, 0, 1, vcc
	v_add_u32_e32 v11, 0xfffffc10, v10
	v_or_b32_e32 v9, v13, v9
	v_lshl_or_b32 v10, v11, 12, v5
	v_cmp_gt_i32_e32 vcc, 1, v11
	v_cndmask_b32_e32 v9, v10, v9, vcc
	v_and_b32_e32 v10, 7, v9
	v_cmp_lt_i32_e32 vcc, 5, v10
	v_cmp_eq_u32_e64 s[0:1], 3, v10
	v_lshrrev_b32_e32 v9, 2, v9
	s_or_b64 vcc, s[0:1], vcc
	v_addc_co_u32_e32 v9, vcc, 0, v9, vcc
	v_cmp_gt_i32_e32 vcc, 31, v11
	v_cndmask_b32_e32 v13, v1, v9, vcc
	v_cmp_ne_u32_e32 vcc, 0, v5
	v_cndmask_b32_e64 v5, 0, 1, vcc
	v_lshl_or_b32 v5, v5, 9, v1
	v_cmp_eq_u32_e32 vcc, s10, v11
	v_mad_u64_u32 v[9:10], s[0:1], s8, v52, 0
	v_cndmask_b32_e32 v16, v13, v5, vcc
	ds_read2_b32 v[13:14], v37 offset0:62 offset1:179
	v_mov_b32_e32 v5, v10
	v_mad_u64_u32 v[10:11], s[0:1], s9, v52, v[5:6]
	v_lshrrev_b32_e32 v12, 16, v12
	s_waitcnt lgkmcnt(0)
	v_lshrrev_b32_e32 v5, 16, v13
	v_mul_f16_sdwa v11, v51, v5 dst_sel:DWORD dst_unused:UNUSED_PAD src0_sel:WORD_1 src1_sel:DWORD
	v_fma_f16 v11, v51, v13, v11
	v_cvt_f32_f16_e32 v11, v11
	v_and_or_b32 v16, v12, s11, v16
	v_and_b32_e32 v15, 0xffff, v15
	v_lshl_or_b32 v15, v16, 16, v15
	v_cvt_f64_f32_e32 v[11:12], v11
	v_mov_b32_e32 v16, s3
	v_add_co_u32_e32 v17, vcc, s2, v7
	v_mul_f64 v[11:12], v[11:12], s[4:5]
	v_addc_co_u32_e32 v16, vcc, v16, v8, vcc
	v_lshlrev_b64 v[7:8], 2, v[9:10]
	v_mul_f16_sdwa v13, v51, v13 dst_sel:DWORD dst_unused:UNUSED_PAD src0_sel:WORD_1 src1_sel:DWORD
	v_add_co_u32_e32 v7, vcc, v17, v7
	v_addc_co_u32_e32 v8, vcc, v16, v8, vcc
	v_and_or_b32 v9, v12, s6, v11
	v_cmp_ne_u32_e32 vcc, 0, v9
	v_cndmask_b32_e64 v9, 0, 1, vcc
	v_lshrrev_b32_e32 v10, 8, v12
	v_and_or_b32 v11, v10, s7, v9
	v_bfe_u32 v10, v12, 20, 11
	global_store_dword v[7:8], v15, off
	v_sub_u32_e32 v15, 0x3f1, v10
	v_or_b32_e32 v9, 0x1000, v11
	v_med3_i32 v15, v15, 0, 13
	v_lshrrev_b32_e32 v16, v15, v9
	v_lshlrev_b32_e32 v15, v15, v16
	v_cmp_ne_u32_e32 vcc, v15, v9
	v_fma_f16 v5, v51, v5, -v13
	v_cndmask_b32_e64 v9, 0, 1, vcc
	v_add_u32_e32 v15, 0xfffffc10, v10
	v_cvt_f32_f16_e32 v5, v5
	v_or_b32_e32 v9, v16, v9
	v_lshl_or_b32 v10, v15, 12, v11
	v_cmp_gt_i32_e32 vcc, 1, v15
	v_cndmask_b32_e32 v9, v10, v9, vcc
	v_and_b32_e32 v10, 7, v9
	v_cmp_lt_i32_e32 vcc, 5, v10
	v_cmp_eq_u32_e64 s[0:1], 3, v10
	v_lshrrev_b32_e32 v13, 2, v9
	v_cvt_f64_f32_e32 v[9:10], v5
	s_or_b64 vcc, s[0:1], vcc
	v_addc_co_u32_e32 v5, vcc, 0, v13, vcc
	v_mul_f64 v[9:10], v[9:10], s[4:5]
	v_cmp_gt_i32_e32 vcc, 31, v15
	v_cndmask_b32_e32 v5, v1, v5, vcc
	v_cmp_ne_u32_e32 vcc, 0, v11
	v_cndmask_b32_e64 v11, 0, 1, vcc
	v_lshl_or_b32 v11, v11, 9, v1
	v_cmp_eq_u32_e32 vcc, s10, v15
	v_cndmask_b32_e32 v5, v5, v11, vcc
	v_and_or_b32 v9, v10, s6, v9
	v_lshrrev_b32_e32 v11, 16, v12
	v_cmp_ne_u32_e32 vcc, 0, v9
	v_and_or_b32 v5, v11, s11, v5
	v_cndmask_b32_e64 v9, 0, 1, vcc
	v_lshrrev_b32_e32 v11, 8, v10
	v_bfe_u32 v12, v10, 20, 11
	v_and_or_b32 v9, v11, s7, v9
	v_sub_u32_e32 v13, 0x3f1, v12
	v_or_b32_e32 v11, 0x1000, v9
	v_med3_i32 v13, v13, 0, 13
	v_lshrrev_b32_e32 v15, v13, v11
	v_lshlrev_b32_e32 v13, v13, v15
	v_cmp_ne_u32_e32 vcc, v13, v11
	v_cndmask_b32_e64 v11, 0, 1, vcc
	v_add_u32_e32 v12, 0xfffffc10, v12
	v_or_b32_e32 v11, v15, v11
	v_lshl_or_b32 v13, v12, 12, v9
	v_cmp_gt_i32_e32 vcc, 1, v12
	v_cndmask_b32_e32 v11, v13, v11, vcc
	v_and_b32_e32 v13, 7, v11
	v_cmp_lt_i32_e32 vcc, 5, v13
	v_cmp_eq_u32_e64 s[0:1], 3, v13
	v_lshrrev_b32_e32 v11, 2, v11
	s_or_b64 vcc, s[0:1], vcc
	v_addc_co_u32_e32 v11, vcc, 0, v11, vcc
	v_cmp_gt_i32_e32 vcc, 31, v12
	v_cndmask_b32_e32 v11, v1, v11, vcc
	v_cmp_ne_u32_e32 vcc, 0, v9
	v_cndmask_b32_e64 v9, 0, 1, vcc
	v_lshl_or_b32 v9, v9, 9, v1
	v_cmp_eq_u32_e32 vcc, s10, v12
	v_cndmask_b32_e32 v9, v11, v9, vcc
	v_lshrrev_b32_e32 v11, 16, v6
	v_mul_f16_sdwa v12, v50, v11 dst_sel:DWORD dst_unused:UNUSED_PAD src0_sel:WORD_1 src1_sel:DWORD
	v_fma_f16 v12, v50, v6, v12
	v_cvt_f32_f16_e32 v12, v12
	v_lshrrev_b32_e32 v10, 16, v10
	v_and_or_b32 v9, v10, s11, v9
	v_and_b32_e32 v5, 0xffff, v5
	v_lshl_or_b32 v5, v9, 16, v5
	v_cvt_f64_f32_e32 v[9:10], v12
	s_mul_i32 s0, s9, 0xaf8
	s_mul_hi_u32 s2, s8, 0xaf8
	s_add_i32 s2, s2, s0
	v_mul_f64 v[9:10], v[9:10], s[4:5]
	s_mul_i32 s3, s8, 0xaf8
	v_mov_b32_e32 v12, s2
	v_add_co_u32_e32 v7, vcc, s3, v7
	v_addc_co_u32_e32 v8, vcc, v8, v12, vcc
	global_store_dword v[7:8], v5, off
	v_and_or_b32 v5, v10, s6, v9
	v_cmp_ne_u32_e32 vcc, 0, v5
	v_cndmask_b32_e64 v5, 0, 1, vcc
	v_lshrrev_b32_e32 v9, 8, v10
	v_bfe_u32 v12, v10, 20, 11
	v_and_or_b32 v9, v9, s7, v5
	v_sub_u32_e32 v13, 0x3f1, v12
	v_or_b32_e32 v5, 0x1000, v9
	v_med3_i32 v13, v13, 0, 13
	v_lshrrev_b32_e32 v15, v13, v5
	v_mul_f16_sdwa v6, v50, v6 dst_sel:DWORD dst_unused:UNUSED_PAD src0_sel:WORD_1 src1_sel:DWORD
	v_lshlrev_b32_e32 v13, v13, v15
	v_fma_f16 v6, v50, v11, -v6
	v_cmp_ne_u32_e32 vcc, v13, v5
	v_cvt_f32_f16_e32 v6, v6
	v_cndmask_b32_e64 v5, 0, 1, vcc
	v_add_u32_e32 v12, 0xfffffc10, v12
	v_or_b32_e32 v5, v15, v5
	v_lshl_or_b32 v13, v12, 12, v9
	v_cmp_gt_i32_e32 vcc, 1, v12
	v_cndmask_b32_e32 v5, v13, v5, vcc
	v_and_b32_e32 v13, 7, v5
	v_lshrrev_b32_e32 v11, 2, v5
	v_cvt_f64_f32_e32 v[5:6], v6
	v_cmp_lt_i32_e32 vcc, 5, v13
	v_cmp_eq_u32_e64 s[0:1], 3, v13
	s_or_b64 vcc, s[0:1], vcc
	v_mul_f64 v[5:6], v[5:6], s[4:5]
	v_addc_co_u32_e32 v11, vcc, 0, v11, vcc
	v_cmp_gt_i32_e32 vcc, 31, v12
	v_cndmask_b32_e32 v11, v1, v11, vcc
	v_cmp_ne_u32_e32 vcc, 0, v9
	v_cndmask_b32_e64 v9, 0, 1, vcc
	v_lshl_or_b32 v9, v9, 9, v1
	v_cmp_eq_u32_e32 vcc, s10, v12
	v_and_or_b32 v5, v6, s6, v5
	v_cndmask_b32_e32 v9, v11, v9, vcc
	v_lshrrev_b32_e32 v10, 16, v10
	v_cmp_ne_u32_e32 vcc, 0, v5
	v_and_or_b32 v9, v10, s11, v9
	v_cndmask_b32_e64 v5, 0, 1, vcc
	v_lshrrev_b32_e32 v10, 8, v6
	v_bfe_u32 v11, v6, 20, 11
	v_and_or_b32 v5, v10, s7, v5
	v_sub_u32_e32 v12, 0x3f1, v11
	v_or_b32_e32 v10, 0x1000, v5
	v_med3_i32 v12, v12, 0, 13
	v_lshrrev_b32_e32 v13, v12, v10
	v_lshlrev_b32_e32 v12, v12, v13
	v_cmp_ne_u32_e32 vcc, v12, v10
	v_cndmask_b32_e64 v10, 0, 1, vcc
	v_add_u32_e32 v11, 0xfffffc10, v11
	v_or_b32_e32 v10, v13, v10
	v_lshl_or_b32 v12, v11, 12, v5
	v_cmp_gt_i32_e32 vcc, 1, v11
	v_cndmask_b32_e32 v10, v12, v10, vcc
	v_and_b32_e32 v12, 7, v10
	v_cmp_lt_i32_e32 vcc, 5, v12
	v_cmp_eq_u32_e64 s[0:1], 3, v12
	v_lshrrev_b32_e32 v10, 2, v10
	s_or_b64 vcc, s[0:1], vcc
	v_addc_co_u32_e32 v10, vcc, 0, v10, vcc
	v_cmp_gt_i32_e32 vcc, 31, v11
	v_cndmask_b32_e32 v10, v1, v10, vcc
	v_cmp_ne_u32_e32 vcc, 0, v5
	v_cndmask_b32_e64 v5, 0, 1, vcc
	v_lshl_or_b32 v5, v5, 9, v1
	v_cmp_eq_u32_e32 vcc, s10, v11
	v_cndmask_b32_e32 v5, v10, v5, vcc
	v_lshrrev_b32_e32 v6, 16, v6
	v_lshrrev_b32_e32 v10, 16, v14
	v_and_or_b32 v5, v6, s11, v5
	v_mul_f16_sdwa v6, v49, v10 dst_sel:DWORD dst_unused:UNUSED_PAD src0_sel:WORD_1 src1_sel:DWORD
	v_fma_f16 v6, v49, v14, v6
	v_cvt_f32_f16_e32 v6, v6
	v_and_b32_e32 v9, 0xffff, v9
	v_lshl_or_b32 v9, v5, 16, v9
	s_mul_hi_u32 s1, s8, 0xfffff6dc
	v_cvt_f64_f32_e32 v[5:6], v6
	s_mul_i32 s0, s9, 0xfffff6dc
	s_sub_i32 s9, s1, s8
	s_add_i32 s9, s9, s0
	v_mul_f64 v[5:6], v[5:6], s[4:5]
	s_mulk_i32 s8, 0xf6dc
	v_mov_b32_e32 v11, s9
	v_add_co_u32_e32 v7, vcc, s8, v7
	v_addc_co_u32_e32 v8, vcc, v8, v11, vcc
	global_store_dword v[7:8], v9, off
	v_and_or_b32 v5, v6, s6, v5
	v_cmp_ne_u32_e32 vcc, 0, v5
	v_cndmask_b32_e64 v5, 0, 1, vcc
	v_lshrrev_b32_e32 v9, 8, v6
	v_bfe_u32 v11, v6, 20, 11
	v_and_or_b32 v5, v9, s7, v5
	v_sub_u32_e32 v12, 0x3f1, v11
	v_or_b32_e32 v9, 0x1000, v5
	v_med3_i32 v12, v12, 0, 13
	v_lshrrev_b32_e32 v13, v12, v9
	v_lshlrev_b32_e32 v12, v12, v13
	v_cmp_ne_u32_e32 vcc, v12, v9
	v_cndmask_b32_e64 v9, 0, 1, vcc
	v_or_b32_e32 v9, v13, v9
	v_mul_f16_sdwa v13, v49, v14 dst_sel:DWORD dst_unused:UNUSED_PAD src0_sel:WORD_1 src1_sel:DWORD
	v_fma_f16 v10, v49, v10, -v13
	v_add_u32_e32 v11, 0xfffffc10, v11
	v_cvt_f32_f16_e32 v10, v10
	v_lshl_or_b32 v12, v11, 12, v5
	v_cmp_gt_i32_e32 vcc, 1, v11
	v_cndmask_b32_e32 v9, v12, v9, vcc
	v_and_b32_e32 v12, 7, v9
	v_cmp_lt_i32_e32 vcc, 5, v12
	v_cmp_eq_u32_e64 s[0:1], 3, v12
	v_lshrrev_b32_e32 v12, 2, v9
	v_cvt_f64_f32_e32 v[9:10], v10
	s_or_b64 vcc, s[0:1], vcc
	v_addc_co_u32_e32 v12, vcc, 0, v12, vcc
	v_mul_f64 v[9:10], v[9:10], s[4:5]
	v_cmp_gt_i32_e32 vcc, 31, v11
	v_cndmask_b32_e32 v12, v1, v12, vcc
	v_cmp_ne_u32_e32 vcc, 0, v5
	v_cndmask_b32_e64 v5, 0, 1, vcc
	v_lshl_or_b32 v5, v5, 9, v1
	v_cmp_eq_u32_e32 vcc, s10, v11
	v_cndmask_b32_e32 v5, v12, v5, vcc
	v_lshrrev_b32_e32 v6, 16, v6
	v_and_or_b32 v6, v6, s11, v5
	v_and_or_b32 v5, v10, s6, v9
	v_cmp_ne_u32_e32 vcc, 0, v5
	v_cndmask_b32_e64 v5, 0, 1, vcc
	v_lshrrev_b32_e32 v9, 8, v10
	v_bfe_u32 v11, v10, 20, 11
	v_and_or_b32 v9, v9, s7, v5
	v_sub_u32_e32 v12, 0x3f1, v11
	v_or_b32_e32 v5, 0x1000, v9
	v_med3_i32 v12, v12, 0, 13
	v_lshrrev_b32_e32 v13, v12, v5
	v_lshlrev_b32_e32 v12, v12, v13
	v_cmp_ne_u32_e32 vcc, v12, v5
	v_cndmask_b32_e64 v5, 0, 1, vcc
	v_add_u32_e32 v11, 0xfffffc10, v11
	v_or_b32_e32 v5, v13, v5
	v_lshl_or_b32 v12, v11, 12, v9
	v_cmp_gt_i32_e32 vcc, 1, v11
	v_cndmask_b32_e32 v5, v12, v5, vcc
	v_and_b32_e32 v12, 7, v5
	v_cmp_lt_i32_e32 vcc, 5, v12
	v_cmp_eq_u32_e64 s[0:1], 3, v12
	v_lshrrev_b32_e32 v5, 2, v5
	s_or_b64 vcc, s[0:1], vcc
	v_addc_co_u32_e32 v12, vcc, 0, v5, vcc
	ds_read2_b32 v[4:5], v4 offset0:106 offset1:223
	v_cmp_gt_i32_e32 vcc, 31, v11
	v_cndmask_b32_e32 v12, v1, v12, vcc
	v_cmp_ne_u32_e32 vcc, 0, v9
	v_cndmask_b32_e64 v9, 0, 1, vcc
	s_waitcnt lgkmcnt(0)
	v_lshrrev_b32_e32 v13, 16, v4
	v_mul_f16_sdwa v14, v48, v13 dst_sel:DWORD dst_unused:UNUSED_PAD src0_sel:WORD_1 src1_sel:DWORD
	v_fma_f16 v14, v48, v4, v14
	v_cvt_f32_f16_e32 v14, v14
	v_lshl_or_b32 v9, v9, 9, v1
	v_cmp_eq_u32_e32 vcc, s10, v11
	v_cndmask_b32_e32 v9, v12, v9, vcc
	v_cvt_f64_f32_e32 v[11:12], v14
	v_lshrrev_b32_e32 v10, 16, v10
	v_and_or_b32 v14, v10, s11, v9
	v_and_b32_e32 v6, 0xffff, v6
	v_mul_f64 v[9:10], v[11:12], s[4:5]
	v_lshl_or_b32 v11, v14, 16, v6
	v_mov_b32_e32 v12, s2
	v_add_co_u32_e32 v6, vcc, s3, v7
	v_addc_co_u32_e32 v7, vcc, v8, v12, vcc
	global_store_dword v[6:7], v11, off
	v_and_or_b32 v8, v10, s6, v9
	v_cmp_ne_u32_e32 vcc, 0, v8
	v_cndmask_b32_e64 v8, 0, 1, vcc
	v_lshrrev_b32_e32 v9, 8, v10
	v_and_or_b32 v11, v9, s7, v8
	v_bfe_u32 v9, v10, 20, 11
	v_sub_u32_e32 v12, 0x3f1, v9
	v_or_b32_e32 v8, 0x1000, v11
	v_med3_i32 v12, v12, 0, 13
	v_lshrrev_b32_e32 v14, v12, v8
	v_lshlrev_b32_e32 v12, v12, v14
	v_mul_f16_sdwa v4, v48, v4 dst_sel:DWORD dst_unused:UNUSED_PAD src0_sel:WORD_1 src1_sel:DWORD
	v_cmp_ne_u32_e32 vcc, v12, v8
	v_fma_f16 v4, v48, v13, -v4
	v_cndmask_b32_e64 v8, 0, 1, vcc
	v_add_u32_e32 v12, 0xfffffc10, v9
	v_cvt_f32_f16_e32 v4, v4
	v_or_b32_e32 v8, v14, v8
	v_lshl_or_b32 v9, v12, 12, v11
	v_cmp_gt_i32_e32 vcc, 1, v12
	v_cndmask_b32_e32 v8, v9, v8, vcc
	v_and_b32_e32 v9, 7, v8
	v_cmp_lt_i32_e32 vcc, 5, v9
	v_cmp_eq_u32_e64 s[0:1], 3, v9
	v_lshrrev_b32_e32 v13, 2, v8
	v_cvt_f64_f32_e32 v[8:9], v4
	s_or_b64 vcc, s[0:1], vcc
	v_addc_co_u32_e32 v4, vcc, 0, v13, vcc
	v_mul_f64 v[8:9], v[8:9], s[4:5]
	v_cmp_gt_i32_e32 vcc, 31, v12
	v_cndmask_b32_e32 v4, v1, v4, vcc
	v_cmp_ne_u32_e32 vcc, 0, v11
	v_cndmask_b32_e64 v11, 0, 1, vcc
	v_lshl_or_b32 v11, v11, 9, v1
	v_cmp_eq_u32_e32 vcc, s10, v12
	v_cndmask_b32_e32 v4, v4, v11, vcc
	v_lshrrev_b32_e32 v10, 16, v10
	v_and_or_b32 v12, v10, s11, v4
	v_and_or_b32 v4, v9, s6, v8
	v_cmp_ne_u32_e32 vcc, 0, v4
	v_cndmask_b32_e64 v4, 0, 1, vcc
	v_lshrrev_b32_e32 v8, 8, v9
	v_bfe_u32 v10, v9, 20, 11
	v_and_or_b32 v8, v8, s7, v4
	v_sub_u32_e32 v11, 0x3f1, v10
	v_or_b32_e32 v4, 0x1000, v8
	v_med3_i32 v11, v11, 0, 13
	v_lshrrev_b32_e32 v13, v11, v4
	v_lshlrev_b32_e32 v11, v11, v13
	v_cmp_ne_u32_e32 vcc, v11, v4
	v_cndmask_b32_e64 v4, 0, 1, vcc
	v_add_u32_e32 v10, 0xfffffc10, v10
	v_or_b32_e32 v4, v13, v4
	v_lshl_or_b32 v11, v10, 12, v8
	v_cmp_gt_i32_e32 vcc, 1, v10
	v_cndmask_b32_e32 v4, v11, v4, vcc
	v_and_b32_e32 v11, 7, v4
	v_cmp_lt_i32_e32 vcc, 5, v11
	v_cmp_eq_u32_e64 s[0:1], 3, v11
	v_lshrrev_b32_e32 v4, 2, v4
	s_or_b64 vcc, s[0:1], vcc
	v_addc_co_u32_e32 v11, vcc, 0, v4, vcc
	ds_read2_b32 v[3:4], v3 offset0:40 offset1:157
	v_cmp_gt_i32_e32 vcc, 31, v10
	v_cndmask_b32_e32 v11, v1, v11, vcc
	v_cmp_ne_u32_e32 vcc, 0, v8
	v_cndmask_b32_e64 v8, 0, 1, vcc
	s_waitcnt lgkmcnt(0)
	v_lshrrev_b32_e32 v13, 16, v3
	v_mul_f16_sdwa v14, v47, v13 dst_sel:DWORD dst_unused:UNUSED_PAD src0_sel:WORD_1 src1_sel:DWORD
	v_fma_f16 v14, v47, v3, v14
	v_cvt_f32_f16_e32 v14, v14
	v_lshl_or_b32 v8, v8, 9, v1
	v_cmp_eq_u32_e32 vcc, s10, v10
	v_cndmask_b32_e32 v8, v11, v8, vcc
	v_cvt_f64_f32_e32 v[10:11], v14
	v_lshrrev_b32_e32 v9, 16, v9
	v_and_or_b32 v14, v9, s11, v8
	v_add_co_u32_e32 v6, vcc, s8, v6
	v_mul_f64 v[8:9], v[10:11], s[4:5]
	v_mov_b32_e32 v11, s9
	v_and_b32_e32 v12, 0xffff, v12
	v_addc_co_u32_e32 v7, vcc, v7, v11, vcc
	v_lshl_or_b32 v10, v14, 16, v12
	global_store_dword v[6:7], v10, off
	v_mul_f16_sdwa v3, v47, v3 dst_sel:DWORD dst_unused:UNUSED_PAD src0_sel:WORD_1 src1_sel:DWORD
	v_and_or_b32 v8, v9, s6, v8
	v_cmp_ne_u32_e32 vcc, 0, v8
	v_cndmask_b32_e64 v8, 0, 1, vcc
	v_lshrrev_b32_e32 v10, 8, v9
	v_bfe_u32 v11, v9, 20, 11
	v_and_or_b32 v8, v10, s7, v8
	v_sub_u32_e32 v12, 0x3f1, v11
	v_or_b32_e32 v10, 0x1000, v8
	v_med3_i32 v12, v12, 0, 13
	v_lshrrev_b32_e32 v14, v12, v10
	v_lshlrev_b32_e32 v12, v12, v14
	v_cmp_ne_u32_e32 vcc, v12, v10
	v_fma_f16 v3, v47, v13, -v3
	v_cndmask_b32_e64 v10, 0, 1, vcc
	v_add_u32_e32 v12, 0xfffffc10, v11
	v_cvt_f32_f16_e32 v3, v3
	v_or_b32_e32 v10, v14, v10
	v_lshl_or_b32 v11, v12, 12, v8
	v_cmp_gt_i32_e32 vcc, 1, v12
	v_cndmask_b32_e32 v10, v11, v10, vcc
	v_and_b32_e32 v11, 7, v10
	v_cmp_lt_i32_e32 vcc, 5, v11
	v_cmp_eq_u32_e64 s[0:1], 3, v11
	v_lshrrev_b32_e32 v13, 2, v10
	v_cvt_f64_f32_e32 v[10:11], v3
	s_or_b64 vcc, s[0:1], vcc
	v_addc_co_u32_e32 v3, vcc, 0, v13, vcc
	v_mul_f64 v[10:11], v[10:11], s[4:5]
	v_cmp_gt_i32_e32 vcc, 31, v12
	v_cndmask_b32_e32 v3, v1, v3, vcc
	v_cmp_ne_u32_e32 vcc, 0, v8
	v_cndmask_b32_e64 v8, 0, 1, vcc
	v_lshl_or_b32 v8, v8, 9, v1
	v_cmp_eq_u32_e32 vcc, s10, v12
	v_cndmask_b32_e32 v3, v3, v8, vcc
	v_lshrrev_b32_e32 v8, 16, v9
	v_and_or_b32 v3, v8, s11, v3
	v_and_or_b32 v8, v11, s6, v10
	v_cmp_ne_u32_e32 vcc, 0, v8
	v_cndmask_b32_e64 v8, 0, 1, vcc
	v_lshrrev_b32_e32 v9, 8, v11
	v_bfe_u32 v10, v11, 20, 11
	v_and_or_b32 v8, v9, s7, v8
	v_sub_u32_e32 v12, 0x3f1, v10
	v_or_b32_e32 v9, 0x1000, v8
	v_med3_i32 v12, v12, 0, 13
	v_lshrrev_b32_e32 v13, v12, v9
	v_lshlrev_b32_e32 v12, v12, v13
	v_cmp_ne_u32_e32 vcc, v12, v9
	v_cndmask_b32_e64 v9, 0, 1, vcc
	v_add_u32_e32 v10, 0xfffffc10, v10
	v_or_b32_e32 v9, v13, v9
	v_lshl_or_b32 v12, v10, 12, v8
	v_cmp_gt_i32_e32 vcc, 1, v10
	v_cndmask_b32_e32 v9, v12, v9, vcc
	v_and_b32_e32 v12, 7, v9
	v_cmp_lt_i32_e32 vcc, 5, v12
	v_cmp_eq_u32_e64 s[0:1], 3, v12
	v_lshrrev_b32_e32 v12, 16, v5
	v_lshrrev_b32_e32 v9, 2, v9
	s_or_b64 vcc, s[0:1], vcc
	v_mul_f16_sdwa v13, v46, v12 dst_sel:DWORD dst_unused:UNUSED_PAD src0_sel:WORD_1 src1_sel:DWORD
	v_addc_co_u32_e32 v9, vcc, 0, v9, vcc
	v_fma_f16 v13, v46, v5, v13
	v_cmp_gt_i32_e32 vcc, 31, v10
	v_cvt_f32_f16_e32 v13, v13
	v_cndmask_b32_e32 v9, v1, v9, vcc
	v_cmp_ne_u32_e32 vcc, 0, v8
	v_cndmask_b32_e64 v8, 0, 1, vcc
	v_lshl_or_b32 v8, v8, 9, v1
	v_cmp_eq_u32_e32 vcc, s10, v10
	v_cndmask_b32_e32 v10, v9, v8, vcc
	v_cvt_f64_f32_e32 v[8:9], v13
	v_lshrrev_b32_e32 v11, 16, v11
	v_and_or_b32 v10, v11, s11, v10
	v_and_b32_e32 v3, 0xffff, v3
	v_mul_f64 v[8:9], v[8:9], s[4:5]
	v_lshl_or_b32 v3, v10, 16, v3
	v_mov_b32_e32 v10, s2
	v_add_co_u32_e32 v6, vcc, s3, v6
	v_addc_co_u32_e32 v7, vcc, v7, v10, vcc
	global_store_dword v[6:7], v3, off
	v_and_or_b32 v3, v9, s6, v8
	v_cmp_ne_u32_e32 vcc, 0, v3
	v_cndmask_b32_e64 v3, 0, 1, vcc
	v_lshrrev_b32_e32 v8, 8, v9
	v_bfe_u32 v10, v9, 20, 11
	v_and_or_b32 v3, v8, s7, v3
	v_sub_u32_e32 v11, 0x3f1, v10
	v_or_b32_e32 v8, 0x1000, v3
	v_med3_i32 v11, v11, 0, 13
	v_lshrrev_b32_e32 v13, v11, v8
	v_lshlrev_b32_e32 v11, v11, v13
	v_cmp_ne_u32_e32 vcc, v11, v8
	v_mul_f16_sdwa v5, v46, v5 dst_sel:DWORD dst_unused:UNUSED_PAD src0_sel:WORD_1 src1_sel:DWORD
	v_cndmask_b32_e64 v8, 0, 1, vcc
	v_fma_f16 v5, v46, v12, -v5
	v_or_b32_e32 v8, v13, v8
	v_add_u32_e32 v13, 0xfffffc10, v10
	v_cvt_f32_f16_e32 v5, v5
	v_lshl_or_b32 v10, v13, 12, v3
	v_cmp_gt_i32_e32 vcc, 1, v13
	v_cndmask_b32_e32 v8, v10, v8, vcc
	v_and_b32_e32 v10, 7, v8
	v_cmp_lt_i32_e32 vcc, 5, v10
	v_cmp_eq_u32_e64 s[0:1], 3, v10
	v_cvt_f64_f32_e32 v[10:11], v5
	v_lshrrev_b32_e32 v8, 2, v8
	s_or_b64 vcc, s[0:1], vcc
	v_addc_co_u32_e32 v5, vcc, 0, v8, vcc
	v_mul_f64 v[10:11], v[10:11], s[4:5]
	v_cmp_gt_i32_e32 vcc, 31, v13
	v_cndmask_b32_e32 v5, v1, v5, vcc
	v_cmp_ne_u32_e32 vcc, 0, v3
	v_cndmask_b32_e64 v3, 0, 1, vcc
	v_lshl_or_b32 v3, v3, 9, v1
	v_cmp_eq_u32_e32 vcc, s10, v13
	v_cndmask_b32_e32 v3, v5, v3, vcc
	v_lshrrev_b32_e32 v5, 16, v9
	v_and_or_b32 v3, v5, s11, v3
	v_and_or_b32 v5, v11, s6, v10
	v_cmp_ne_u32_e32 vcc, 0, v5
	v_cndmask_b32_e64 v5, 0, 1, vcc
	v_lshrrev_b32_e32 v8, 8, v11
	v_bfe_u32 v9, v11, 20, 11
	v_and_or_b32 v5, v8, s7, v5
	v_sub_u32_e32 v10, 0x3f1, v9
	v_or_b32_e32 v8, 0x1000, v5
	v_med3_i32 v10, v10, 0, 13
	v_lshrrev_b32_e32 v12, v10, v8
	v_lshlrev_b32_e32 v10, v10, v12
	v_cmp_ne_u32_e32 vcc, v10, v8
	v_cndmask_b32_e64 v8, 0, 1, vcc
	v_add_u32_e32 v9, 0xfffffc10, v9
	v_or_b32_e32 v8, v12, v8
	v_lshl_or_b32 v10, v9, 12, v5
	v_cmp_gt_i32_e32 vcc, 1, v9
	v_cndmask_b32_e32 v8, v10, v8, vcc
	v_and_b32_e32 v10, 7, v8
	v_cmp_lt_i32_e32 vcc, 5, v10
	v_cmp_eq_u32_e64 s[0:1], 3, v10
	v_lshrrev_b32_e32 v10, 16, v4
	v_lshrrev_b32_e32 v8, 2, v8
	s_or_b64 vcc, s[0:1], vcc
	v_mul_f16_sdwa v12, v45, v10 dst_sel:DWORD dst_unused:UNUSED_PAD src0_sel:WORD_1 src1_sel:DWORD
	v_addc_co_u32_e32 v8, vcc, 0, v8, vcc
	v_fma_f16 v12, v45, v4, v12
	v_cmp_gt_i32_e32 vcc, 31, v9
	v_cvt_f32_f16_e32 v12, v12
	v_cndmask_b32_e32 v8, v1, v8, vcc
	v_cmp_ne_u32_e32 vcc, 0, v5
	v_cndmask_b32_e64 v5, 0, 1, vcc
	v_lshl_or_b32 v5, v5, 9, v1
	v_cmp_eq_u32_e32 vcc, s10, v9
	v_cndmask_b32_e32 v5, v8, v5, vcc
	v_cvt_f64_f32_e32 v[8:9], v12
	v_lshrrev_b32_e32 v11, 16, v11
	v_and_or_b32 v5, v11, s11, v5
	v_and_b32_e32 v3, 0xffff, v3
	v_mul_f64 v[8:9], v[8:9], s[4:5]
	v_lshl_or_b32 v3, v5, 16, v3
	v_mov_b32_e32 v11, s9
	v_add_co_u32_e32 v5, vcc, s8, v6
	v_addc_co_u32_e32 v6, vcc, v7, v11, vcc
	global_store_dword v[5:6], v3, off
	v_and_or_b32 v3, v9, s6, v8
	v_cmp_ne_u32_e32 vcc, 0, v3
	v_cndmask_b32_e64 v3, 0, 1, vcc
	v_lshrrev_b32_e32 v7, 8, v9
	v_bfe_u32 v8, v9, 20, 11
	v_and_or_b32 v7, v7, s7, v3
	v_sub_u32_e32 v11, 0x3f1, v8
	v_or_b32_e32 v3, 0x1000, v7
	v_med3_i32 v11, v11, 0, 13
	v_lshrrev_b32_e32 v12, v11, v3
	v_mul_f16_sdwa v4, v45, v4 dst_sel:DWORD dst_unused:UNUSED_PAD src0_sel:WORD_1 src1_sel:DWORD
	v_lshlrev_b32_e32 v11, v11, v12
	v_fma_f16 v4, v45, v10, -v4
	v_cmp_ne_u32_e32 vcc, v11, v3
	v_cvt_f32_f16_e32 v4, v4
	v_cndmask_b32_e64 v3, 0, 1, vcc
	v_add_u32_e32 v8, 0xfffffc10, v8
	v_or_b32_e32 v3, v12, v3
	v_lshl_or_b32 v11, v8, 12, v7
	v_cmp_gt_i32_e32 vcc, 1, v8
	v_cndmask_b32_e32 v3, v11, v3, vcc
	v_and_b32_e32 v11, 7, v3
	v_lshrrev_b32_e32 v10, 2, v3
	v_cvt_f64_f32_e32 v[3:4], v4
	v_cmp_lt_i32_e32 vcc, 5, v11
	v_cmp_eq_u32_e64 s[0:1], 3, v11
	s_or_b64 vcc, s[0:1], vcc
	v_mul_f64 v[3:4], v[3:4], s[4:5]
	v_addc_co_u32_e32 v10, vcc, 0, v10, vcc
	v_cmp_gt_i32_e32 vcc, 31, v8
	v_cndmask_b32_e32 v10, v1, v10, vcc
	v_cmp_ne_u32_e32 vcc, 0, v7
	v_cndmask_b32_e64 v7, 0, 1, vcc
	v_lshl_or_b32 v7, v7, 9, v1
	v_cmp_eq_u32_e32 vcc, s10, v8
	v_and_or_b32 v3, v4, s6, v3
	v_cndmask_b32_e32 v7, v10, v7, vcc
	v_lshrrev_b32_e32 v8, 16, v9
	v_cmp_ne_u32_e32 vcc, 0, v3
	v_and_or_b32 v9, v8, s11, v7
	v_cndmask_b32_e64 v3, 0, 1, vcc
	v_lshrrev_b32_e32 v7, 8, v4
	v_bfe_u32 v8, v4, 20, 11
	v_and_or_b32 v7, v7, s7, v3
	v_sub_u32_e32 v10, 0x3f1, v8
	v_or_b32_e32 v3, 0x1000, v7
	v_med3_i32 v10, v10, 0, 13
	v_lshrrev_b32_e32 v11, v10, v3
	v_lshlrev_b32_e32 v10, v10, v11
	v_cmp_ne_u32_e32 vcc, v10, v3
	v_cndmask_b32_e64 v3, 0, 1, vcc
	v_add_u32_e32 v8, 0xfffffc10, v8
	v_or_b32_e32 v3, v11, v3
	v_lshl_or_b32 v10, v8, 12, v7
	v_cmp_gt_i32_e32 vcc, 1, v8
	v_cndmask_b32_e32 v3, v10, v3, vcc
	v_and_b32_e32 v10, 7, v3
	v_cmp_lt_i32_e32 vcc, 5, v10
	v_cmp_eq_u32_e64 s[0:1], 3, v10
	v_lshrrev_b32_e32 v3, 2, v3
	s_or_b64 vcc, s[0:1], vcc
	v_addc_co_u32_e32 v10, vcc, 0, v3, vcc
	ds_read2_b32 v[2:3], v2 offset0:84 offset1:201
	v_cmp_gt_i32_e32 vcc, 31, v8
	v_cndmask_b32_e32 v10, v1, v10, vcc
	v_cmp_ne_u32_e32 vcc, 0, v7
	v_cndmask_b32_e64 v7, 0, 1, vcc
	s_waitcnt lgkmcnt(0)
	v_lshrrev_b32_e32 v11, 16, v2
	v_mul_f16_sdwa v12, v44, v11 dst_sel:DWORD dst_unused:UNUSED_PAD src0_sel:WORD_1 src1_sel:DWORD
	v_fma_f16 v12, v44, v2, v12
	v_cvt_f32_f16_e32 v12, v12
	v_lshl_or_b32 v7, v7, 9, v1
	v_cmp_eq_u32_e32 vcc, s10, v8
	v_cndmask_b32_e32 v10, v10, v7, vcc
	v_cvt_f64_f32_e32 v[7:8], v12
	v_lshrrev_b32_e32 v4, 16, v4
	v_and_or_b32 v4, v4, s11, v10
	v_and_b32_e32 v9, 0xffff, v9
	v_mul_f64 v[7:8], v[7:8], s[4:5]
	v_lshl_or_b32 v9, v4, 16, v9
	v_mov_b32_e32 v10, s2
	v_add_co_u32_e32 v4, vcc, s3, v5
	v_addc_co_u32_e32 v5, vcc, v6, v10, vcc
	global_store_dword v[4:5], v9, off
	v_and_or_b32 v6, v8, s6, v7
	v_cmp_ne_u32_e32 vcc, 0, v6
	v_cndmask_b32_e64 v6, 0, 1, vcc
	v_lshrrev_b32_e32 v7, 8, v8
	v_and_or_b32 v9, v7, s7, v6
	v_bfe_u32 v7, v8, 20, 11
	v_sub_u32_e32 v10, 0x3f1, v7
	v_or_b32_e32 v6, 0x1000, v9
	v_med3_i32 v10, v10, 0, 13
	v_lshrrev_b32_e32 v12, v10, v6
	v_lshlrev_b32_e32 v10, v10, v12
	v_mul_f16_sdwa v2, v44, v2 dst_sel:DWORD dst_unused:UNUSED_PAD src0_sel:WORD_1 src1_sel:DWORD
	v_cmp_ne_u32_e32 vcc, v10, v6
	v_fma_f16 v2, v44, v11, -v2
	v_cndmask_b32_e64 v6, 0, 1, vcc
	v_add_u32_e32 v10, 0xfffffc10, v7
	v_cvt_f32_f16_e32 v2, v2
	v_or_b32_e32 v6, v12, v6
	v_lshl_or_b32 v7, v10, 12, v9
	v_cmp_gt_i32_e32 vcc, 1, v10
	v_cndmask_b32_e32 v6, v7, v6, vcc
	v_and_b32_e32 v7, 7, v6
	v_cmp_lt_i32_e32 vcc, 5, v7
	v_cmp_eq_u32_e64 s[0:1], 3, v7
	v_lshrrev_b32_e32 v11, 2, v6
	v_cvt_f64_f32_e32 v[6:7], v2
	s_or_b64 vcc, s[0:1], vcc
	v_addc_co_u32_e32 v2, vcc, 0, v11, vcc
	v_mul_f64 v[6:7], v[6:7], s[4:5]
	v_cmp_gt_i32_e32 vcc, 31, v10
	v_cndmask_b32_e32 v2, v1, v2, vcc
	v_cmp_ne_u32_e32 vcc, 0, v9
	v_cndmask_b32_e64 v9, 0, 1, vcc
	v_lshl_or_b32 v9, v9, 9, v1
	v_cmp_eq_u32_e32 vcc, s10, v10
	v_cndmask_b32_e32 v2, v2, v9, vcc
	v_and_or_b32 v6, v7, s6, v6
	v_lshrrev_b32_e32 v8, 16, v8
	v_cmp_ne_u32_e32 vcc, 0, v6
	v_and_or_b32 v2, v8, s11, v2
	v_cndmask_b32_e64 v6, 0, 1, vcc
	v_lshrrev_b32_e32 v8, 8, v7
	v_bfe_u32 v9, v7, 20, 11
	v_and_or_b32 v6, v8, s7, v6
	v_sub_u32_e32 v10, 0x3f1, v9
	v_or_b32_e32 v8, 0x1000, v6
	v_med3_i32 v10, v10, 0, 13
	v_lshrrev_b32_e32 v11, v10, v8
	v_lshlrev_b32_e32 v10, v10, v11
	v_cmp_ne_u32_e32 vcc, v10, v8
	v_cndmask_b32_e64 v8, 0, 1, vcc
	v_add_u32_e32 v10, 0xfffffc10, v9
	v_or_b32_e32 v8, v11, v8
	v_lshl_or_b32 v9, v10, 12, v6
	v_cmp_gt_i32_e32 vcc, 1, v10
	v_cndmask_b32_e32 v8, v9, v8, vcc
	v_and_b32_e32 v9, 7, v8
	v_cmp_lt_i32_e32 vcc, 5, v9
	v_cmp_eq_u32_e64 s[0:1], 3, v9
	v_lshrrev_b32_e32 v8, 2, v8
	s_or_b64 vcc, s[0:1], vcc
	v_addc_co_u32_e32 v11, vcc, 0, v8, vcc
	ds_read2_b32 v[8:9], v0 offset0:18 offset1:135
	v_cmp_gt_i32_e32 vcc, 31, v10
	v_cndmask_b32_e32 v0, v1, v11, vcc
	v_cmp_ne_u32_e32 vcc, 0, v6
	v_cndmask_b32_e64 v6, 0, 1, vcc
	s_waitcnt lgkmcnt(0)
	v_lshrrev_b32_e32 v12, 16, v8
	v_mul_f16_sdwa v11, v43, v12 dst_sel:DWORD dst_unused:UNUSED_PAD src0_sel:WORD_1 src1_sel:DWORD
	v_fma_f16 v11, v43, v8, v11
	v_cvt_f32_f16_e32 v11, v11
	v_cmp_eq_u32_e32 vcc, s10, v10
	v_lshl_or_b32 v6, v6, 9, v1
	v_cndmask_b32_e32 v0, v0, v6, vcc
	v_cvt_f64_f32_e32 v[10:11], v11
	v_lshrrev_b32_e32 v6, 16, v7
	v_and_or_b32 v0, v6, s11, v0
	v_and_b32_e32 v2, 0xffff, v2
	v_mul_f64 v[6:7], v[10:11], s[4:5]
	v_lshl_or_b32 v0, v0, 16, v2
	v_mov_b32_e32 v2, s9
	v_add_co_u32_e32 v4, vcc, s8, v4
	v_addc_co_u32_e32 v5, vcc, v5, v2, vcc
	global_store_dword v[4:5], v0, off
	v_and_or_b32 v0, v7, s6, v6
	v_cmp_ne_u32_e32 vcc, 0, v0
	v_cndmask_b32_e64 v0, 0, 1, vcc
	v_lshrrev_b32_e32 v2, 8, v7
	v_bfe_u32 v6, v7, 20, 11
	v_and_or_b32 v0, v2, s7, v0
	v_sub_u32_e32 v10, 0x3f1, v6
	v_or_b32_e32 v2, 0x1000, v0
	v_med3_i32 v10, v10, 0, 13
	v_lshrrev_b32_e32 v11, v10, v2
	v_lshlrev_b32_e32 v10, v10, v11
	v_mul_f16_sdwa v8, v43, v8 dst_sel:DWORD dst_unused:UNUSED_PAD src0_sel:WORD_1 src1_sel:DWORD
	v_cmp_ne_u32_e32 vcc, v10, v2
	v_fma_f16 v8, v43, v12, -v8
	v_cndmask_b32_e64 v2, 0, 1, vcc
	v_add_u32_e32 v6, 0xfffffc10, v6
	v_cvt_f32_f16_e32 v8, v8
	v_or_b32_e32 v2, v11, v2
	v_lshl_or_b32 v10, v6, 12, v0
	v_cmp_gt_i32_e32 vcc, 1, v6
	v_cndmask_b32_e32 v2, v10, v2, vcc
	v_and_b32_e32 v10, 7, v2
	v_cmp_lt_i32_e32 vcc, 5, v10
	v_cmp_eq_u32_e64 s[0:1], 3, v10
	v_cvt_f64_f32_e32 v[10:11], v8
	v_lshrrev_b32_e32 v2, 2, v2
	s_or_b64 vcc, s[0:1], vcc
	v_addc_co_u32_e32 v2, vcc, 0, v2, vcc
	v_mul_f64 v[10:11], v[10:11], s[4:5]
	v_cmp_gt_i32_e32 vcc, 31, v6
	v_cndmask_b32_e32 v2, v1, v2, vcc
	v_cmp_ne_u32_e32 vcc, 0, v0
	v_cndmask_b32_e64 v0, 0, 1, vcc
	v_lshl_or_b32 v0, v0, 9, v1
	v_cmp_eq_u32_e32 vcc, s10, v6
	v_cndmask_b32_e32 v0, v2, v0, vcc
	v_lshrrev_b32_e32 v2, 16, v7
	v_and_or_b32 v0, v2, s11, v0
	v_and_or_b32 v2, v11, s6, v10
	v_cmp_ne_u32_e32 vcc, 0, v2
	v_cndmask_b32_e64 v2, 0, 1, vcc
	v_lshrrev_b32_e32 v6, 8, v11
	v_bfe_u32 v7, v11, 20, 11
	v_and_or_b32 v2, v6, s7, v2
	v_sub_u32_e32 v8, 0x3f1, v7
	v_or_b32_e32 v6, 0x1000, v2
	v_med3_i32 v8, v8, 0, 13
	v_lshrrev_b32_e32 v10, v8, v6
	v_lshlrev_b32_e32 v8, v8, v10
	v_cmp_ne_u32_e32 vcc, v8, v6
	v_cndmask_b32_e64 v6, 0, 1, vcc
	v_add_u32_e32 v7, 0xfffffc10, v7
	v_or_b32_e32 v6, v10, v6
	v_lshl_or_b32 v8, v7, 12, v2
	v_cmp_gt_i32_e32 vcc, 1, v7
	v_cndmask_b32_e32 v6, v8, v6, vcc
	v_and_b32_e32 v8, 7, v6
	v_cmp_lt_i32_e32 vcc, 5, v8
	v_cmp_eq_u32_e64 s[0:1], 3, v8
	v_lshrrev_b32_e32 v8, 16, v3
	v_lshrrev_b32_e32 v6, 2, v6
	s_or_b64 vcc, s[0:1], vcc
	v_mul_f16_sdwa v10, v42, v8 dst_sel:DWORD dst_unused:UNUSED_PAD src0_sel:WORD_1 src1_sel:DWORD
	v_addc_co_u32_e32 v6, vcc, 0, v6, vcc
	v_fma_f16 v10, v42, v3, v10
	v_cmp_gt_i32_e32 vcc, 31, v7
	v_cvt_f32_f16_e32 v10, v10
	v_cndmask_b32_e32 v6, v1, v6, vcc
	v_cmp_ne_u32_e32 vcc, 0, v2
	v_cndmask_b32_e64 v2, 0, 1, vcc
	v_lshl_or_b32 v2, v2, 9, v1
	v_cmp_eq_u32_e32 vcc, s10, v7
	v_cndmask_b32_e32 v2, v6, v2, vcc
	v_cvt_f64_f32_e32 v[6:7], v10
	v_lshrrev_b32_e32 v10, 16, v11
	v_and_or_b32 v2, v10, s11, v2
	v_and_b32_e32 v0, 0xffff, v0
	v_mul_f64 v[6:7], v[6:7], s[4:5]
	v_lshl_or_b32 v0, v2, 16, v0
	v_mov_b32_e32 v2, s2
	v_add_co_u32_e32 v4, vcc, s3, v4
	v_addc_co_u32_e32 v5, vcc, v5, v2, vcc
	global_store_dword v[4:5], v0, off
	v_and_or_b32 v0, v7, s6, v6
	v_cmp_ne_u32_e32 vcc, 0, v0
	v_cndmask_b32_e64 v0, 0, 1, vcc
	v_lshrrev_b32_e32 v2, 8, v7
	v_bfe_u32 v6, v7, 20, 11
	v_and_or_b32 v0, v2, s7, v0
	v_sub_u32_e32 v10, 0x3f1, v6
	v_or_b32_e32 v2, 0x1000, v0
	v_med3_i32 v10, v10, 0, 13
	v_lshrrev_b32_e32 v11, v10, v2
	v_mul_f16_sdwa v3, v42, v3 dst_sel:DWORD dst_unused:UNUSED_PAD src0_sel:WORD_1 src1_sel:DWORD
	v_lshlrev_b32_e32 v10, v10, v11
	v_fma_f16 v3, v42, v8, -v3
	v_cmp_ne_u32_e32 vcc, v10, v2
	v_cvt_f32_f16_e32 v3, v3
	v_cndmask_b32_e64 v2, 0, 1, vcc
	v_add_u32_e32 v6, 0xfffffc10, v6
	v_or_b32_e32 v2, v11, v2
	v_lshl_or_b32 v10, v6, 12, v0
	v_cmp_gt_i32_e32 vcc, 1, v6
	v_cndmask_b32_e32 v2, v10, v2, vcc
	v_and_b32_e32 v10, 7, v2
	v_lshrrev_b32_e32 v8, 2, v2
	v_cvt_f64_f32_e32 v[2:3], v3
	v_cmp_lt_i32_e32 vcc, 5, v10
	v_cmp_eq_u32_e64 s[0:1], 3, v10
	s_or_b64 vcc, s[0:1], vcc
	v_mul_f64 v[2:3], v[2:3], s[4:5]
	v_addc_co_u32_e32 v8, vcc, 0, v8, vcc
	v_cmp_gt_i32_e32 vcc, 31, v6
	v_cndmask_b32_e32 v8, v1, v8, vcc
	v_cmp_ne_u32_e32 vcc, 0, v0
	v_cndmask_b32_e64 v0, 0, 1, vcc
	v_lshl_or_b32 v0, v0, 9, v1
	v_cmp_eq_u32_e32 vcc, s10, v6
	v_and_or_b32 v2, v3, s6, v2
	v_cndmask_b32_e32 v0, v8, v0, vcc
	v_lshrrev_b32_e32 v6, 16, v7
	v_cmp_ne_u32_e32 vcc, 0, v2
	v_and_or_b32 v0, v6, s11, v0
	v_cndmask_b32_e64 v2, 0, 1, vcc
	v_lshrrev_b32_e32 v6, 8, v3
	v_bfe_u32 v7, v3, 20, 11
	v_and_or_b32 v2, v6, s7, v2
	v_sub_u32_e32 v8, 0x3f1, v7
	v_or_b32_e32 v6, 0x1000, v2
	v_med3_i32 v8, v8, 0, 13
	v_lshrrev_b32_e32 v10, v8, v6
	v_lshlrev_b32_e32 v8, v8, v10
	v_cmp_ne_u32_e32 vcc, v8, v6
	v_cndmask_b32_e64 v6, 0, 1, vcc
	v_add_u32_e32 v7, 0xfffffc10, v7
	v_or_b32_e32 v6, v10, v6
	v_lshl_or_b32 v8, v7, 12, v2
	v_cmp_gt_i32_e32 vcc, 1, v7
	v_cndmask_b32_e32 v6, v8, v6, vcc
	v_and_b32_e32 v8, 7, v6
	v_cmp_lt_i32_e32 vcc, 5, v8
	v_cmp_eq_u32_e64 s[0:1], 3, v8
	v_lshrrev_b32_e32 v8, 16, v9
	v_lshrrev_b32_e32 v6, 2, v6
	s_or_b64 vcc, s[0:1], vcc
	v_mul_f16_sdwa v10, v41, v8 dst_sel:DWORD dst_unused:UNUSED_PAD src0_sel:WORD_1 src1_sel:DWORD
	v_addc_co_u32_e32 v6, vcc, 0, v6, vcc
	v_fma_f16 v10, v41, v9, v10
	v_cmp_gt_i32_e32 vcc, 31, v7
	v_cvt_f32_f16_e32 v10, v10
	v_cndmask_b32_e32 v6, v1, v6, vcc
	v_cmp_ne_u32_e32 vcc, 0, v2
	v_cndmask_b32_e64 v2, 0, 1, vcc
	v_lshl_or_b32 v2, v2, 9, v1
	v_cmp_eq_u32_e32 vcc, s10, v7
	v_cndmask_b32_e32 v2, v6, v2, vcc
	v_cvt_f64_f32_e32 v[6:7], v10
	v_lshrrev_b32_e32 v3, 16, v3
	v_and_or_b32 v10, v3, s11, v2
	v_and_b32_e32 v0, 0xffff, v0
	v_mul_f64 v[2:3], v[6:7], s[4:5]
	v_mov_b32_e32 v6, s9
	v_add_co_u32_e32 v4, vcc, s8, v4
	v_lshl_or_b32 v0, v10, 16, v0
	v_addc_co_u32_e32 v5, vcc, v5, v6, vcc
	global_store_dword v[4:5], v0, off
	v_and_or_b32 v0, v3, s6, v2
	v_cmp_ne_u32_e32 vcc, 0, v0
	v_cndmask_b32_e64 v0, 0, 1, vcc
	v_lshrrev_b32_e32 v2, 8, v3
	v_bfe_u32 v6, v3, 20, 11
	v_and_or_b32 v0, v2, s7, v0
	v_sub_u32_e32 v7, 0x3f1, v6
	v_or_b32_e32 v2, 0x1000, v0
	v_med3_i32 v7, v7, 0, 13
	v_lshrrev_b32_e32 v10, v7, v2
	v_lshlrev_b32_e32 v7, v7, v10
	v_cmp_ne_u32_e32 vcc, v7, v2
	v_mul_f16_sdwa v7, v41, v9 dst_sel:DWORD dst_unused:UNUSED_PAD src0_sel:WORD_1 src1_sel:DWORD
	v_cndmask_b32_e64 v2, 0, 1, vcc
	v_fma_f16 v7, v41, v8, -v7
	v_or_b32_e32 v2, v10, v2
	v_add_u32_e32 v10, 0xfffffc10, v6
	v_cvt_f32_f16_e32 v7, v7
	v_lshl_or_b32 v6, v10, 12, v0
	v_cmp_gt_i32_e32 vcc, 1, v10
	v_cndmask_b32_e32 v2, v6, v2, vcc
	v_and_b32_e32 v6, 7, v2
	v_cmp_lt_i32_e32 vcc, 5, v6
	v_cmp_eq_u32_e64 s[0:1], 3, v6
	v_cvt_f64_f32_e32 v[6:7], v7
	v_lshrrev_b32_e32 v2, 2, v2
	s_or_b64 vcc, s[0:1], vcc
	v_addc_co_u32_e32 v2, vcc, 0, v2, vcc
	v_mul_f64 v[6:7], v[6:7], s[4:5]
	v_cmp_gt_i32_e32 vcc, 31, v10
	v_cndmask_b32_e32 v2, v1, v2, vcc
	v_cmp_ne_u32_e32 vcc, 0, v0
	v_cndmask_b32_e64 v0, 0, 1, vcc
	v_lshl_or_b32 v0, v0, 9, v1
	v_cmp_eq_u32_e32 vcc, s10, v10
	v_cndmask_b32_e32 v0, v2, v0, vcc
	v_lshrrev_b32_e32 v2, 16, v3
	v_and_or_b32 v0, v2, s11, v0
	v_and_or_b32 v2, v7, s6, v6
	v_cmp_ne_u32_e32 vcc, 0, v2
	v_cndmask_b32_e64 v2, 0, 1, vcc
	v_lshrrev_b32_e32 v3, 8, v7
	v_bfe_u32 v6, v7, 20, 11
	v_and_or_b32 v2, v3, s7, v2
	v_sub_u32_e32 v8, 0x3f1, v6
	v_or_b32_e32 v3, 0x1000, v2
	v_med3_i32 v8, v8, 0, 13
	v_lshrrev_b32_e32 v9, v8, v3
	v_lshlrev_b32_e32 v8, v8, v9
	v_cmp_ne_u32_e32 vcc, v8, v3
	v_cndmask_b32_e64 v3, 0, 1, vcc
	v_add_u32_e32 v6, 0xfffffc10, v6
	v_or_b32_e32 v3, v9, v3
	v_lshl_or_b32 v8, v6, 12, v2
	v_cmp_gt_i32_e32 vcc, 1, v6
	v_cndmask_b32_e32 v3, v8, v3, vcc
	v_and_b32_e32 v8, 7, v3
	v_cmp_lt_i32_e32 vcc, 5, v8
	v_cmp_eq_u32_e64 s[0:1], 3, v8
	v_lshrrev_b32_e32 v3, 2, v3
	s_or_b64 vcc, s[0:1], vcc
	v_addc_co_u32_e32 v3, vcc, 0, v3, vcc
	v_cmp_gt_i32_e32 vcc, 31, v6
	v_cndmask_b32_e32 v3, v1, v3, vcc
	v_cmp_ne_u32_e32 vcc, 0, v2
	v_cndmask_b32_e64 v2, 0, 1, vcc
	v_lshl_or_b32 v1, v2, 9, v1
	v_cmp_eq_u32_e32 vcc, s10, v6
	v_cndmask_b32_e32 v1, v3, v1, vcc
	v_lshrrev_b32_e32 v2, 16, v7
	v_and_or_b32 v1, v2, s11, v1
	v_and_b32_e32 v0, 0xffff, v0
	v_lshl_or_b32 v2, v1, 16, v0
	v_mov_b32_e32 v1, s2
	v_add_co_u32_e32 v0, vcc, s3, v4
	v_addc_co_u32_e32 v1, vcc, v5, v1, vcc
	global_store_dword v[0:1], v2, off
.LBB0_10:
	s_endpgm
	.section	.rodata,"a",@progbits
	.p2align	6, 0x0
	.amdhsa_kernel bluestein_single_back_len1404_dim1_half_op_CI_CI
		.amdhsa_group_segment_fixed_size 5616
		.amdhsa_private_segment_fixed_size 0
		.amdhsa_kernarg_size 104
		.amdhsa_user_sgpr_count 6
		.amdhsa_user_sgpr_private_segment_buffer 1
		.amdhsa_user_sgpr_dispatch_ptr 0
		.amdhsa_user_sgpr_queue_ptr 0
		.amdhsa_user_sgpr_kernarg_segment_ptr 1
		.amdhsa_user_sgpr_dispatch_id 0
		.amdhsa_user_sgpr_flat_scratch_init 0
		.amdhsa_user_sgpr_private_segment_size 0
		.amdhsa_uses_dynamic_stack 0
		.amdhsa_system_sgpr_private_segment_wavefront_offset 0
		.amdhsa_system_sgpr_workgroup_id_x 1
		.amdhsa_system_sgpr_workgroup_id_y 0
		.amdhsa_system_sgpr_workgroup_id_z 0
		.amdhsa_system_sgpr_workgroup_info 0
		.amdhsa_system_vgpr_workitem_id 0
		.amdhsa_next_free_vgpr 200
		.amdhsa_next_free_sgpr 30
		.amdhsa_reserve_vcc 1
		.amdhsa_reserve_flat_scratch 0
		.amdhsa_float_round_mode_32 0
		.amdhsa_float_round_mode_16_64 0
		.amdhsa_float_denorm_mode_32 3
		.amdhsa_float_denorm_mode_16_64 3
		.amdhsa_dx10_clamp 1
		.amdhsa_ieee_mode 1
		.amdhsa_fp16_overflow 0
		.amdhsa_exception_fp_ieee_invalid_op 0
		.amdhsa_exception_fp_denorm_src 0
		.amdhsa_exception_fp_ieee_div_zero 0
		.amdhsa_exception_fp_ieee_overflow 0
		.amdhsa_exception_fp_ieee_underflow 0
		.amdhsa_exception_fp_ieee_inexact 0
		.amdhsa_exception_int_div_zero 0
	.end_amdhsa_kernel
	.text
.Lfunc_end0:
	.size	bluestein_single_back_len1404_dim1_half_op_CI_CI, .Lfunc_end0-bluestein_single_back_len1404_dim1_half_op_CI_CI
                                        ; -- End function
	.section	.AMDGPU.csdata,"",@progbits
; Kernel info:
; codeLenInByte = 22676
; NumSgprs: 34
; NumVgprs: 200
; ScratchSize: 0
; MemoryBound: 0
; FloatMode: 240
; IeeeMode: 1
; LDSByteSize: 5616 bytes/workgroup (compile time only)
; SGPRBlocks: 4
; VGPRBlocks: 49
; NumSGPRsForWavesPerEU: 34
; NumVGPRsForWavesPerEU: 200
; Occupancy: 1
; WaveLimiterHint : 1
; COMPUTE_PGM_RSRC2:SCRATCH_EN: 0
; COMPUTE_PGM_RSRC2:USER_SGPR: 6
; COMPUTE_PGM_RSRC2:TRAP_HANDLER: 0
; COMPUTE_PGM_RSRC2:TGID_X_EN: 1
; COMPUTE_PGM_RSRC2:TGID_Y_EN: 0
; COMPUTE_PGM_RSRC2:TGID_Z_EN: 0
; COMPUTE_PGM_RSRC2:TIDIG_COMP_CNT: 0
	.type	__hip_cuid_6e5faf4bcd075742,@object ; @__hip_cuid_6e5faf4bcd075742
	.section	.bss,"aw",@nobits
	.globl	__hip_cuid_6e5faf4bcd075742
__hip_cuid_6e5faf4bcd075742:
	.byte	0                               ; 0x0
	.size	__hip_cuid_6e5faf4bcd075742, 1

	.ident	"AMD clang version 19.0.0git (https://github.com/RadeonOpenCompute/llvm-project roc-6.4.0 25133 c7fe45cf4b819c5991fe208aaa96edf142730f1d)"
	.section	".note.GNU-stack","",@progbits
	.addrsig
	.addrsig_sym __hip_cuid_6e5faf4bcd075742
	.amdgpu_metadata
---
amdhsa.kernels:
  - .args:
      - .actual_access:  read_only
        .address_space:  global
        .offset:         0
        .size:           8
        .value_kind:     global_buffer
      - .actual_access:  read_only
        .address_space:  global
        .offset:         8
        .size:           8
        .value_kind:     global_buffer
      - .actual_access:  read_only
        .address_space:  global
        .offset:         16
        .size:           8
        .value_kind:     global_buffer
      - .actual_access:  read_only
        .address_space:  global
        .offset:         24
        .size:           8
        .value_kind:     global_buffer
      - .actual_access:  read_only
        .address_space:  global
        .offset:         32
        .size:           8
        .value_kind:     global_buffer
      - .offset:         40
        .size:           8
        .value_kind:     by_value
      - .address_space:  global
        .offset:         48
        .size:           8
        .value_kind:     global_buffer
      - .address_space:  global
        .offset:         56
        .size:           8
        .value_kind:     global_buffer
      - .address_space:  global
        .offset:         64
        .size:           8
        .value_kind:     global_buffer
      - .address_space:  global
        .offset:         72
        .size:           8
        .value_kind:     global_buffer
      - .offset:         80
        .size:           4
        .value_kind:     by_value
      - .address_space:  global
        .offset:         88
        .size:           8
        .value_kind:     global_buffer
      - .address_space:  global
        .offset:         96
        .size:           8
        .value_kind:     global_buffer
    .group_segment_fixed_size: 5616
    .kernarg_segment_align: 8
    .kernarg_segment_size: 104
    .language:       OpenCL C
    .language_version:
      - 2
      - 0
    .max_flat_workgroup_size: 117
    .name:           bluestein_single_back_len1404_dim1_half_op_CI_CI
    .private_segment_fixed_size: 0
    .sgpr_count:     34
    .sgpr_spill_count: 0
    .symbol:         bluestein_single_back_len1404_dim1_half_op_CI_CI.kd
    .uniform_work_group_size: 1
    .uses_dynamic_stack: false
    .vgpr_count:     200
    .vgpr_spill_count: 0
    .wavefront_size: 64
amdhsa.target:   amdgcn-amd-amdhsa--gfx906
amdhsa.version:
  - 1
  - 2
...

	.end_amdgpu_metadata
